;; amdgpu-corpus repo=ROCm/rocFFT kind=compiled arch=gfx950 opt=O3
	.text
	.amdgcn_target "amdgcn-amd-amdhsa--gfx950"
	.amdhsa_code_object_version 6
	.protected	fft_rtc_fwd_len1456_factors_13_4_7_2_2_wgs_182_tpt_182_halfLds_sp_ip_CI_unitstride_sbrr_R2C_dirReg ; -- Begin function fft_rtc_fwd_len1456_factors_13_4_7_2_2_wgs_182_tpt_182_halfLds_sp_ip_CI_unitstride_sbrr_R2C_dirReg
	.globl	fft_rtc_fwd_len1456_factors_13_4_7_2_2_wgs_182_tpt_182_halfLds_sp_ip_CI_unitstride_sbrr_R2C_dirReg
	.p2align	8
	.type	fft_rtc_fwd_len1456_factors_13_4_7_2_2_wgs_182_tpt_182_halfLds_sp_ip_CI_unitstride_sbrr_R2C_dirReg,@function
fft_rtc_fwd_len1456_factors_13_4_7_2_2_wgs_182_tpt_182_halfLds_sp_ip_CI_unitstride_sbrr_R2C_dirReg: ; @fft_rtc_fwd_len1456_factors_13_4_7_2_2_wgs_182_tpt_182_halfLds_sp_ip_CI_unitstride_sbrr_R2C_dirReg
; %bb.0:
	s_load_dwordx2 s[8:9], s[0:1], 0x50
	s_load_dwordx4 s[4:7], s[0:1], 0x0
	s_load_dwordx2 s[10:11], s[0:1], 0x18
	v_mul_u32_u24_e32 v1, 0x169, v0
	v_add_u32_sdwa v6, s2, v1 dst_sel:DWORD dst_unused:UNUSED_PAD src0_sel:DWORD src1_sel:WORD_1
	v_mov_b32_e32 v4, 0
	s_waitcnt lgkmcnt(0)
	v_cmp_lt_u64_e64 s[2:3], s[6:7], 2
	v_mov_b32_e32 v7, v4
	s_and_b64 vcc, exec, s[2:3]
	v_mov_b64_e32 v[2:3], 0
	s_cbranch_vccnz .LBB0_8
; %bb.1:
	s_load_dwordx2 s[2:3], s[0:1], 0x10
	s_add_u32 s12, s10, 8
	s_addc_u32 s13, s11, 0
	s_mov_b64 s[14:15], 1
	v_mov_b64_e32 v[2:3], 0
	s_waitcnt lgkmcnt(0)
	s_add_u32 s16, s2, 8
	s_addc_u32 s17, s3, 0
.LBB0_2:                                ; =>This Inner Loop Header: Depth=1
	s_load_dwordx2 s[18:19], s[16:17], 0x0
                                        ; implicit-def: $vgpr8_vgpr9
	s_waitcnt lgkmcnt(0)
	v_or_b32_e32 v5, s19, v7
	v_cmp_ne_u64_e32 vcc, 0, v[4:5]
	s_and_saveexec_b64 s[2:3], vcc
	s_xor_b64 s[20:21], exec, s[2:3]
	s_cbranch_execz .LBB0_4
; %bb.3:                                ;   in Loop: Header=BB0_2 Depth=1
	v_cvt_f32_u32_e32 v1, s18
	v_cvt_f32_u32_e32 v5, s19
	s_sub_u32 s2, 0, s18
	s_subb_u32 s3, 0, s19
	v_fmac_f32_e32 v1, 0x4f800000, v5
	v_rcp_f32_e32 v1, v1
	s_nop 0
	v_mul_f32_e32 v1, 0x5f7ffffc, v1
	v_mul_f32_e32 v5, 0x2f800000, v1
	v_trunc_f32_e32 v5, v5
	v_fmac_f32_e32 v1, 0xcf800000, v5
	v_cvt_u32_f32_e32 v5, v5
	v_cvt_u32_f32_e32 v1, v1
	v_mul_lo_u32 v8, s2, v5
	v_mul_hi_u32 v10, s2, v1
	v_mul_lo_u32 v9, s3, v1
	v_add_u32_e32 v10, v10, v8
	v_mul_lo_u32 v12, s2, v1
	v_add_u32_e32 v13, v10, v9
	v_mul_hi_u32 v8, v1, v12
	v_mul_hi_u32 v11, v1, v13
	v_mul_lo_u32 v10, v1, v13
	v_mov_b32_e32 v9, v4
	v_lshl_add_u64 v[8:9], v[8:9], 0, v[10:11]
	v_mul_hi_u32 v11, v5, v12
	v_mul_lo_u32 v12, v5, v12
	v_add_co_u32_e32 v8, vcc, v8, v12
	v_mul_hi_u32 v10, v5, v13
	s_nop 0
	v_addc_co_u32_e32 v8, vcc, v9, v11, vcc
	v_mov_b32_e32 v9, v4
	s_nop 0
	v_addc_co_u32_e32 v11, vcc, 0, v10, vcc
	v_mul_lo_u32 v10, v5, v13
	v_lshl_add_u64 v[8:9], v[8:9], 0, v[10:11]
	v_add_co_u32_e32 v1, vcc, v1, v8
	v_mul_lo_u32 v10, s2, v1
	s_nop 0
	v_addc_co_u32_e32 v5, vcc, v5, v9, vcc
	v_mul_lo_u32 v8, s2, v5
	v_mul_hi_u32 v9, s2, v1
	v_add_u32_e32 v8, v9, v8
	v_mul_lo_u32 v9, s3, v1
	v_add_u32_e32 v12, v8, v9
	v_mul_hi_u32 v14, v5, v10
	v_mul_lo_u32 v15, v5, v10
	v_mul_hi_u32 v9, v1, v12
	v_mul_lo_u32 v8, v1, v12
	v_mul_hi_u32 v10, v1, v10
	v_mov_b32_e32 v11, v4
	v_lshl_add_u64 v[8:9], v[10:11], 0, v[8:9]
	v_add_co_u32_e32 v8, vcc, v8, v15
	v_mul_hi_u32 v13, v5, v12
	s_nop 0
	v_addc_co_u32_e32 v8, vcc, v9, v14, vcc
	v_mul_lo_u32 v10, v5, v12
	s_nop 0
	v_addc_co_u32_e32 v11, vcc, 0, v13, vcc
	v_mov_b32_e32 v9, v4
	v_lshl_add_u64 v[8:9], v[8:9], 0, v[10:11]
	v_add_co_u32_e32 v1, vcc, v1, v8
	v_mul_hi_u32 v10, v6, v1
	s_nop 0
	v_addc_co_u32_e32 v5, vcc, v5, v9, vcc
	v_mad_u64_u32 v[8:9], s[2:3], v6, v5, 0
	v_mov_b32_e32 v11, v4
	v_lshl_add_u64 v[8:9], v[10:11], 0, v[8:9]
	v_mad_u64_u32 v[12:13], s[2:3], v7, v1, 0
	v_add_co_u32_e32 v1, vcc, v8, v12
	v_mad_u64_u32 v[10:11], s[2:3], v7, v5, 0
	s_nop 0
	v_addc_co_u32_e32 v8, vcc, v9, v13, vcc
	v_mov_b32_e32 v9, v4
	s_nop 0
	v_addc_co_u32_e32 v11, vcc, 0, v11, vcc
	v_lshl_add_u64 v[8:9], v[8:9], 0, v[10:11]
	v_mul_lo_u32 v1, s19, v8
	v_mul_lo_u32 v5, s18, v9
	v_mad_u64_u32 v[10:11], s[2:3], s18, v8, 0
	v_add3_u32 v1, v11, v5, v1
	v_sub_u32_e32 v5, v7, v1
	v_mov_b32_e32 v11, s19
	v_sub_co_u32_e32 v14, vcc, v6, v10
	v_lshl_add_u64 v[12:13], v[8:9], 0, 1
	s_nop 0
	v_subb_co_u32_e64 v5, s[2:3], v5, v11, vcc
	v_subrev_co_u32_e64 v10, s[2:3], s18, v14
	v_subb_co_u32_e32 v1, vcc, v7, v1, vcc
	s_nop 0
	v_subbrev_co_u32_e64 v5, s[2:3], 0, v5, s[2:3]
	v_cmp_le_u32_e64 s[2:3], s19, v5
	v_cmp_le_u32_e32 vcc, s19, v1
	s_nop 0
	v_cndmask_b32_e64 v11, 0, -1, s[2:3]
	v_cmp_le_u32_e64 s[2:3], s18, v10
	s_nop 1
	v_cndmask_b32_e64 v10, 0, -1, s[2:3]
	v_cmp_eq_u32_e64 s[2:3], s19, v5
	s_nop 1
	v_cndmask_b32_e64 v5, v11, v10, s[2:3]
	v_lshl_add_u64 v[10:11], v[8:9], 0, 2
	v_cmp_ne_u32_e64 s[2:3], 0, v5
	s_nop 1
	v_cndmask_b32_e64 v5, v13, v11, s[2:3]
	v_cndmask_b32_e64 v11, 0, -1, vcc
	v_cmp_le_u32_e32 vcc, s18, v14
	s_nop 1
	v_cndmask_b32_e64 v13, 0, -1, vcc
	v_cmp_eq_u32_e32 vcc, s19, v1
	s_nop 1
	v_cndmask_b32_e32 v1, v11, v13, vcc
	v_cmp_ne_u32_e32 vcc, 0, v1
	v_cndmask_b32_e64 v1, v12, v10, s[2:3]
	s_nop 0
	v_cndmask_b32_e32 v9, v9, v5, vcc
	v_cndmask_b32_e32 v8, v8, v1, vcc
.LBB0_4:                                ;   in Loop: Header=BB0_2 Depth=1
	s_andn2_saveexec_b64 s[2:3], s[20:21]
	s_cbranch_execz .LBB0_6
; %bb.5:                                ;   in Loop: Header=BB0_2 Depth=1
	v_cvt_f32_u32_e32 v1, s18
	s_sub_i32 s20, 0, s18
	v_rcp_iflag_f32_e32 v1, v1
	s_nop 0
	v_mul_f32_e32 v1, 0x4f7ffffe, v1
	v_cvt_u32_f32_e32 v1, v1
	v_mul_lo_u32 v5, s20, v1
	v_mul_hi_u32 v5, v1, v5
	v_add_u32_e32 v1, v1, v5
	v_mul_hi_u32 v1, v6, v1
	v_mul_lo_u32 v5, v1, s18
	v_sub_u32_e32 v5, v6, v5
	v_add_u32_e32 v8, 1, v1
	v_subrev_u32_e32 v9, s18, v5
	v_cmp_le_u32_e32 vcc, s18, v5
	s_nop 1
	v_cndmask_b32_e32 v5, v5, v9, vcc
	v_cndmask_b32_e32 v1, v1, v8, vcc
	v_add_u32_e32 v8, 1, v1
	v_cmp_le_u32_e32 vcc, s18, v5
	v_mov_b32_e32 v9, v4
	s_nop 0
	v_cndmask_b32_e32 v8, v1, v8, vcc
.LBB0_6:                                ;   in Loop: Header=BB0_2 Depth=1
	s_or_b64 exec, exec, s[2:3]
	v_mad_u64_u32 v[10:11], s[2:3], v8, s18, 0
	s_load_dwordx2 s[2:3], s[12:13], 0x0
	v_mul_lo_u32 v1, v9, s18
	v_mul_lo_u32 v5, v8, s19
	v_add3_u32 v1, v11, v5, v1
	v_sub_co_u32_e32 v5, vcc, v6, v10
	s_add_u32 s14, s14, 1
	s_nop 0
	v_subb_co_u32_e32 v1, vcc, v7, v1, vcc
	s_addc_u32 s15, s15, 0
	s_waitcnt lgkmcnt(0)
	v_mul_lo_u32 v1, s2, v1
	v_mul_lo_u32 v6, s3, v5
	v_mad_u64_u32 v[2:3], s[2:3], s2, v5, v[2:3]
	s_add_u32 s12, s12, 8
	v_add3_u32 v3, v6, v3, v1
	s_addc_u32 s13, s13, 0
	v_mov_b64_e32 v[6:7], s[6:7]
	s_add_u32 s16, s16, 8
	v_cmp_ge_u64_e32 vcc, s[14:15], v[6:7]
	s_addc_u32 s17, s17, 0
	s_cbranch_vccnz .LBB0_9
; %bb.7:                                ;   in Loop: Header=BB0_2 Depth=1
	v_mov_b64_e32 v[6:7], v[8:9]
	s_branch .LBB0_2
.LBB0_8:
	v_mov_b64_e32 v[8:9], v[6:7]
.LBB0_9:
	s_lshl_b64 s[2:3], s[6:7], 3
	s_add_u32 s2, s10, s2
	s_addc_u32 s3, s11, s3
	s_load_dwordx2 s[6:7], s[2:3], 0x0
	s_load_dwordx2 s[10:11], s[0:1], 0x20
	s_mov_b32 s2, 0x1681682
	s_waitcnt lgkmcnt(0)
	v_mul_lo_u32 v1, s6, v9
	v_mul_lo_u32 v4, s7, v8
	v_mad_u64_u32 v[2:3], s[0:1], s6, v8, v[2:3]
	v_add3_u32 v3, v4, v3, v1
	v_mul_hi_u32 v1, v0, s2
	v_mul_u32_u24_e32 v1, 0xb6, v1
	v_sub_u32_e32 v28, v0, v1
	v_cmp_gt_u64_e64 s[0:1], s[10:11], v[8:9]
	v_lshl_add_u64 v[26:27], v[2:3], 3, s[8:9]
	v_lshl_add_u32 v184, v28, 3, 0
	s_and_saveexec_b64 s[2:3], s[0:1]
	s_cbranch_execz .LBB0_11
; %bb.10:
	v_mov_b32_e32 v29, 0
	v_lshl_add_u64 v[0:1], v[28:29], 3, v[26:27]
	v_add_co_u32_e32 v2, vcc, 0x1000, v0
	s_nop 1
	v_addc_co_u32_e32 v3, vcc, 0, v1, vcc
	global_load_dwordx2 v[4:5], v[0:1], off
	global_load_dwordx2 v[6:7], v[0:1], off offset:1456
	global_load_dwordx2 v[8:9], v[0:1], off offset:2912
	;; [unrolled: 1-line block ×3, first 2 shown]
	v_add_co_u32_e32 v0, vcc, 0x2000, v0
	s_nop 1
	v_addc_co_u32_e32 v1, vcc, 0, v1, vcc
	global_load_dwordx2 v[12:13], v[2:3], off offset:1728
	global_load_dwordx2 v[14:15], v[2:3], off offset:3184
	;; [unrolled: 1-line block ×4, first 2 shown]
	v_add_u32_e32 v0, 0xa00, v184
	v_add_u32_e32 v1, 0x1600, v184
	s_waitcnt vmcnt(6)
	ds_write2_b64 v184, v[4:5], v[6:7] offset1:182
	s_waitcnt vmcnt(4)
	ds_write2_b64 v0, v[8:9], v[10:11] offset0:44 offset1:226
	s_waitcnt vmcnt(2)
	ds_write2_b64 v1, v[12:13], v[14:15] offset0:24 offset1:206
	v_add_u32_e32 v0, 0x2000, v184
	s_waitcnt vmcnt(0)
	ds_write2_b64 v0, v[16:17], v[18:19] offset0:68 offset1:250
.LBB0_11:
	s_or_b64 exec, exec, s[2:3]
	v_add_u32_e32 v0, 0x400, v184
	v_add_u32_e32 v29, 0xc00, v184
	s_waitcnt lgkmcnt(0)
	s_barrier
	ds_read2_b64 v[2:5], v184 offset1:112
	ds_read2_b64 v[6:9], v0 offset0:96 offset1:208
	ds_read2_b64 v[10:13], v29 offset0:64 offset1:176
	ds_read_b64 v[74:75], v184 offset:10752
	v_add_u32_e32 v185, 0x2000, v184
	ds_read2_b64 v[18:21], v185 offset0:96 offset1:208
	v_add_u32_e32 v0, 0x1800, v184
	s_mov_b32 s10, 0xbf29c268
	s_waitcnt lgkmcnt(1)
	v_pk_add_f32 v[44:45], v[4:5], v[74:75] neg_lo:[0,1] neg_hi:[0,1]
	ds_read2_b64 v[14:17], v0 offset0:128 offset1:240
	v_pk_add_f32 v[38:39], v[74:75], v[4:5]
	s_mov_b32 s6, 0xbf3f9e67
	v_pk_mul_f32 v[0:1], v[44:45], s[10:11] op_sel_hi:[1,0]
	s_waitcnt lgkmcnt(1)
	v_pk_add_f32 v[48:49], v[6:7], v[20:21] neg_lo:[0,1] neg_hi:[0,1]
	s_mov_b32 s12, 0x3f7e222b
	v_pk_fma_f32 v[56:57], v[38:39], s[6:7], v[0:1] op_sel:[0,0,1] op_sel_hi:[1,0,0]
	v_pk_fma_f32 v[58:59], v[38:39], s[6:7], v[0:1] op_sel:[0,0,1] op_sel_hi:[1,0,0] neg_lo:[0,0,1] neg_hi:[0,0,1]
	v_pk_add_f32 v[40:41], v[20:21], v[6:7]
	s_mov_b32 s2, 0x3df6dbef
	v_pk_mul_f32 v[22:23], v[48:49], s[12:13] op_sel_hi:[1,0]
	v_mov_b32_e32 v0, v56
	v_mov_b32_e32 v1, v59
	v_pk_fma_f32 v[60:61], v[40:41], s[2:3], v[22:23] op_sel:[0,0,1] op_sel_hi:[1,0,0]
	v_pk_fma_f32 v[64:65], v[40:41], s[2:3], v[22:23] op_sel:[0,0,1] op_sel_hi:[1,0,0] neg_lo:[0,0,1] neg_hi:[0,0,1]
	v_pk_add_f32 v[0:1], v[2:3], v[0:1]
	v_mov_b32_e32 v22, v60
	v_mov_b32_e32 v23, v65
	v_pk_add_f32 v[52:53], v[8:9], v[18:19] neg_lo:[0,1] neg_hi:[0,1]
	s_mov_b32 s30, 0xbf52af12
	v_pk_add_f32 v[0:1], v[22:23], v[0:1]
	v_pk_add_f32 v[42:43], v[18:19], v[8:9]
	s_mov_b32 s8, 0x3f116cb1
	v_pk_mul_f32 v[22:23], v[52:53], s[30:31] op_sel_hi:[1,0]
	s_waitcnt lgkmcnt(0)
	v_pk_add_f32 v[54:55], v[10:11], v[16:17] neg_lo:[0,1] neg_hi:[0,1]
	v_pk_fma_f32 v[66:67], v[42:43], s[8:9], v[22:23] op_sel:[0,0,1] op_sel_hi:[1,0,0]
	v_pk_fma_f32 v[68:69], v[42:43], s[8:9], v[22:23] op_sel:[0,0,1] op_sel_hi:[1,0,0] neg_lo:[0,0,1] neg_hi:[0,0,1]
	v_mov_b32_e32 v22, v66
	v_mov_b32_e32 v23, v69
	s_mov_b32 s26, 0x3e750f2a
	v_pk_add_f32 v[0:1], v[22:23], v[0:1]
	v_pk_add_f32 v[46:47], v[16:17], v[10:11]
	s_mov_b32 s14, 0xbf788fa5
	v_pk_mul_f32 v[22:23], v[54:55], s[26:27] op_sel_hi:[1,0]
	s_mov_b32 s18, 0x3eedf032
	v_pk_fma_f32 v[70:71], v[46:47], s[14:15], v[22:23] op_sel:[0,0,1] op_sel_hi:[1,0,0]
	v_pk_fma_f32 v[72:73], v[46:47], s[14:15], v[22:23] op_sel:[0,0,1] op_sel_hi:[1,0,0] neg_lo:[0,0,1] neg_hi:[0,0,1]
	v_mov_b32_e32 v22, v70
	v_mov_b32_e32 v23, v73
	v_pk_add_f32 v[62:63], v[12:13], v[14:15] neg_lo:[0,1] neg_hi:[0,1]
	v_pk_add_f32 v[0:1], v[22:23], v[0:1]
	s_mov_b32 s16, 0x3f62ad3f
	v_pk_add_f32 v[50:51], v[14:15], v[12:13]
	v_pk_mul_f32 v[22:23], v[62:63], s[18:19] op_sel_hi:[1,0]
	s_mov_b32 s22, 0xbeedf032
	v_pk_fma_f32 v[76:77], v[50:51], s[16:17], v[22:23] op_sel:[0,0,1] op_sel_hi:[1,0,0]
	v_pk_fma_f32 v[78:79], v[50:51], s[16:17], v[22:23] op_sel:[0,0,1] op_sel_hi:[1,0,0] neg_lo:[0,0,1] neg_hi:[0,0,1]
	v_mov_b32_e32 v22, v76
	v_mov_b32_e32 v23, v79
	s_mov_b32 s28, 0xbf7e222b
	v_pk_add_f32 v[0:1], v[22:23], v[0:1]
	s_mov_b32 s20, 0xbe750f2a
	v_pk_mul_f32 v[22:23], v[44:45], s[22:23] op_sel_hi:[1,0]
	v_pk_mul_f32 v[24:25], v[44:45], s[28:29] op_sel_hi:[1,0]
	v_pk_fma_f32 v[80:81], v[38:39], s[16:17], v[22:23] op_sel:[0,0,1] op_sel_hi:[1,0,0] neg_lo:[0,0,1] neg_hi:[0,0,1]
	v_pk_fma_f32 v[100:101], v[38:39], s[2:3], v[24:25] op_sel:[0,0,1] op_sel_hi:[1,0,0]
	v_pk_mul_f32 v[32:33], v[48:49], s[30:31] op_sel_hi:[1,0]
	v_pk_mul_f32 v[34:35], v[48:49], s[20:21] op_sel_hi:[1,0]
	v_mov_b32_e32 v30, v100
	v_mov_b32_e32 v31, v81
	v_pk_fma_f32 v[86:87], v[40:41], s[8:9], v[32:33] op_sel:[0,0,1] op_sel_hi:[1,0,0] neg_lo:[0,0,1] neg_hi:[0,0,1]
	v_pk_fma_f32 v[108:109], v[40:41], s[14:15], v[34:35] op_sel:[0,0,1] op_sel_hi:[1,0,0]
	v_pk_add_f32 v[30:31], v[2:3], v[30:31]
	v_mov_b32_e32 v36, v108
	v_mov_b32_e32 v37, v87
	s_mov_b32 s24, 0x3f6f5d39
	v_pk_add_f32 v[30:31], v[36:37], v[30:31]
	s_mov_b32 s22, 0xbeb58ec6
	v_pk_mul_f32 v[36:37], v[52:53], s[28:29] op_sel_hi:[1,0]
	v_pk_mul_f32 v[82:83], v[52:53], s[24:25] op_sel_hi:[1,0]
	v_pk_fma_f32 v[88:89], v[42:43], s[2:3], v[36:37] op_sel:[0,0,1] op_sel_hi:[1,0,0] neg_lo:[0,0,1] neg_hi:[0,0,1]
	v_pk_fma_f32 v[114:115], v[42:43], s[22:23], v[82:83] op_sel:[0,0,1] op_sel_hi:[1,0,0]
	v_mov_b32_e32 v85, v89
	v_mov_b32_e32 v84, v114
	s_mov_b32 s24, 0xbf6f5d39
	v_pk_mul_f32 v[98:99], v[46:47], s[22:23] op_sel_hi:[1,0]
	v_pk_mul_f32 v[116:117], v[46:47], s[16:17] op_sel_hi:[1,0]
	v_pk_add_f32 v[30:31], v[84:85], v[30:31]
	v_mov_b32_e32 v84, v99
	v_mov_b32_e32 v85, v116
	v_pk_mul_f32 v[132:133], v[54:55], s[24:25] op_sel_hi:[1,0]
	v_pk_mul_f32 v[96:97], v[48:49], s[24:25] op_sel_hi:[1,0]
	s_mov_b32 s25, s18
	v_pk_fma_f32 v[90:91], v[54:55], s[24:25], v[84:85] neg_lo:[1,0,0] neg_hi:[1,0,0]
	v_pk_fma_f32 v[84:85], v[54:55], s[24:25], v[84:85]
	v_pk_fma_f32 v[110:111], v[38:39], s[16:17], v[22:23] op_sel:[0,0,1] op_sel_hi:[1,0,0]
	v_mov_b32_e32 v91, v85
	v_pk_fma_f32 v[92:93], v[38:39], s[2:3], v[24:25] op_sel:[0,0,1] op_sel_hi:[1,0,0] neg_lo:[0,0,1] neg_hi:[0,0,1]
	v_pk_add_f32 v[30:31], v[90:91], v[30:31] op_sel:[0,1] op_sel_hi:[1,0]
	v_pk_fma_f32 v[106:107], v[40:41], s[8:9], v[32:33] op_sel:[0,0,1] op_sel_hi:[1,0,0]
	v_pk_fma_f32 v[90:91], v[40:41], s[14:15], v[34:35] op_sel:[0,0,1] op_sel_hi:[1,0,0] neg_lo:[0,0,1] neg_hi:[0,0,1]
	v_mov_b32_e32 v22, v110
	v_mov_b32_e32 v23, v93
	v_pk_add_f32 v[22:23], v[2:3], v[22:23]
	v_mov_b32_e32 v24, v106
	v_mov_b32_e32 v25, v91
	v_pk_fma_f32 v[112:113], v[42:43], s[2:3], v[36:37] op_sel:[0,0,1] op_sel_hi:[1,0,0]
	v_pk_fma_f32 v[94:95], v[42:43], s[22:23], v[82:83] op_sel:[0,0,1] op_sel_hi:[1,0,0] neg_lo:[0,0,1] neg_hi:[0,0,1]
	v_pk_add_f32 v[22:23], v[24:25], v[22:23]
	v_mov_b32_e32 v24, v112
	v_mov_b32_e32 v25, v95
	v_pk_fma_f32 v[124:125], v[40:41], s[22:23], v[96:97] op_sel:[0,0,1] op_sel_hi:[1,0,0]
	v_pk_fma_f32 v[96:97], v[40:41], s[22:23], v[96:97] op_sel:[0,0,1] op_sel_hi:[1,0,0] neg_lo:[0,0,1] neg_hi:[0,0,1]
	s_mov_b32 s23, s16
	v_pk_mul_f32 v[148:149], v[54:55], s[18:19] op_sel_hi:[1,0]
	v_pk_add_f32 v[22:23], v[24:25], v[22:23]
	v_pk_fma_f32 v[24:25], v[46:47], s[22:23], v[132:133] op_sel:[0,0,1] op_sel_hi:[1,1,0]
	v_pk_fma_f32 v[32:33], v[46:47], s[22:23], v[148:149] op_sel:[0,0,1] op_sel_hi:[1,1,0] neg_lo:[0,0,1] neg_hi:[0,0,1]
	v_pk_mul_f32 v[34:35], v[62:63], s[30:31] op_sel_hi:[1,0]
	v_mov_b32_e32 v25, v33
	v_pk_add_f32 v[32:33], v[24:25], v[22:23]
	v_pk_mul_f32 v[22:23], v[62:63], s[10:11] op_sel_hi:[1,0]
	v_pk_fma_f32 v[138:139], v[50:51], s[8:9], v[34:35] op_sel:[0,0,1] op_sel_hi:[1,0,0]
	v_pk_fma_f32 v[104:105], v[50:51], s[6:7], v[22:23] op_sel:[0,0,1] op_sel_hi:[1,0,0] neg_lo:[0,0,1] neg_hi:[0,0,1]
	v_mov_b32_e32 v25, v138
	v_mov_b32_e32 v24, v105
	v_pk_fma_f32 v[122:123], v[50:51], s[6:7], v[22:23] op_sel:[0,0,1] op_sel_hi:[1,0,0]
	v_add_u32_e32 v22, 0x1400, v184
	v_pk_add_f32 v[30:31], v[24:25], v[30:31]
	ds_read2_b64 v[22:25], v22 offset0:32 offset1:144
	v_pk_fma_f32 v[102:103], v[50:51], s[8:9], v[34:35] op_sel:[0,0,1] op_sel_hi:[1,0,0] neg_lo:[0,0,1] neg_hi:[0,0,1]
	v_mov_b32_e32 v34, v122
	v_mov_b32_e32 v35, v103
	v_pk_add_f32 v[186:187], v[34:35], v[32:33]
	s_waitcnt lgkmcnt(0)
	v_pk_add_f32 v[84:85], v[22:23], v[24:25] neg_lo:[0,1] neg_hi:[0,1]
	v_pk_add_f32 v[82:83], v[24:25], v[22:23]
	v_pk_mul_f32 v[156:157], v[84:85], s[20:21] op_sel_hi:[1,0]
	v_pk_mul_f32 v[188:189], v[84:85], s[10:11] op_sel_hi:[1,0]
	v_pk_fma_f32 v[118:119], v[82:83], s[14:15], v[156:157] op_sel:[0,0,1] op_sel_hi:[1,0,0] neg_lo:[0,0,1] neg_hi:[0,0,1]
	v_pk_fma_f32 v[146:147], v[82:83], s[6:7], v[188:189] op_sel:[0,0,1] op_sel_hi:[1,0,0]
	v_mov_b32_e32 v32, v119
	v_mov_b32_e32 v33, v146
	v_pk_add_f32 v[30:31], v[32:33], v[30:31]
	s_mov_b32 s34, 0x3f29c268
	v_pk_mul_f32 v[32:33], v[44:45], s[30:31] op_sel_hi:[1,0]
	v_pk_mul_f32 v[34:35], v[44:45], s[24:25] op_sel_hi:[1,0]
	v_pk_fma_f32 v[120:121], v[38:39], s[8:9], v[32:33] op_sel:[0,0,1] op_sel_hi:[1,0,0] neg_lo:[0,0,1] neg_hi:[0,0,1]
	v_pk_fma_f32 v[158:159], v[38:39], s[22:23], v[34:35] op_sel:[0,0,1] op_sel_hi:[1,0,0]
	v_pk_mul_f32 v[128:129], v[48:49], s[34:35] op_sel_hi:[1,0]
	v_mov_b32_e32 v36, v158
	v_mov_b32_e32 v37, v121
	v_pk_fma_f32 v[162:163], v[40:41], s[6:7], v[128:129] op_sel:[0,0,1] op_sel_hi:[1,0,0]
	v_pk_add_f32 v[36:37], v[2:3], v[36:37]
	v_mov_b32_e32 v126, v162
	v_mov_b32_e32 v127, v97
	v_pk_mul_f32 v[136:137], v[52:53], s[20:21] op_sel_hi:[1,0]
	v_pk_mul_f32 v[140:141], v[52:53], s[18:19] op_sel_hi:[1,0]
	v_pk_add_f32 v[36:37], v[126:127], v[36:37]
	v_pk_fma_f32 v[126:127], v[42:43], s[14:15], v[136:137] op_sel:[0,0,1] op_sel_hi:[1,0,0] neg_lo:[0,0,1] neg_hi:[0,0,1]
	v_pk_fma_f32 v[166:167], v[42:43], s[16:17], v[140:141] op_sel:[0,0,1] op_sel_hi:[1,0,0]
	v_mov_b32_e32 v131, v127
	v_mov_b32_e32 v130, v166
	v_pk_add_f32 v[36:37], v[130:131], v[36:37]
	v_pk_mul_f32 v[130:131], v[62:63], s[12:13] op_sel_hi:[1,0]
	v_pk_mul_f32 v[170:171], v[46:47], s[2:3] op_sel_hi:[1,0]
	v_pk_fma_f32 v[154:155], v[50:51], s[2:3], v[130:131] op_sel:[0,0,1] op_sel_hi:[1,0,0]
	v_pk_fma_f32 v[134:135], v[50:51], s[2:3], v[130:131] op_sel:[0,0,1] op_sel_hi:[1,0,0] neg_lo:[0,0,1] neg_hi:[0,0,1]
	s_mov_b32 s3, s6
	v_pk_mul_f32 v[174:175], v[54:55], s[34:35] op_sel_hi:[1,0]
	v_pk_mul_f32 v[172:173], v[54:55], s[28:29] op_sel_hi:[1,0]
	v_pk_fma_f32 v[142:143], v[46:47], s[2:3], v[174:175] op_sel:[0,0,1] op_sel_hi:[1,1,0] neg_lo:[0,0,1] neg_hi:[0,0,1]
	v_pk_fma_f32 v[130:131], v[46:47], s[2:3], v[172:173] op_sel:[0,0,1] op_sel_hi:[1,1,0]
	v_pk_fma_f32 v[160:161], v[38:39], s[8:9], v[32:33] op_sel:[0,0,1] op_sel_hi:[1,0,0]
	v_mov_b32_e32 v131, v143
	v_pk_add_f32 v[36:37], v[130:131], v[36:37]
	v_pk_fma_f32 v[130:131], v[38:39], s[22:23], v[34:35] op_sel:[0,0,1] op_sel_hi:[1,0,0] neg_lo:[0,0,1] neg_hi:[0,0,1]
	v_pk_fma_f32 v[128:129], v[40:41], s[6:7], v[128:129] op_sel:[0,0,1] op_sel_hi:[1,0,0] neg_lo:[0,0,1] neg_hi:[0,0,1]
	v_mov_b32_e32 v32, v160
	v_mov_b32_e32 v33, v131
	v_pk_add_f32 v[32:33], v[2:3], v[32:33]
	v_mov_b32_e32 v34, v124
	v_mov_b32_e32 v35, v129
	v_pk_fma_f32 v[164:165], v[42:43], s[14:15], v[136:137] op_sel:[0,0,1] op_sel_hi:[1,0,0]
	v_pk_fma_f32 v[136:137], v[42:43], s[16:17], v[140:141] op_sel:[0,0,1] op_sel_hi:[1,0,0] neg_lo:[0,0,1] neg_hi:[0,0,1]
	v_pk_add_f32 v[32:33], v[34:35], v[32:33]
	v_mov_b32_e32 v34, v164
	v_mov_b32_e32 v35, v137
	v_pk_mul_f32 v[168:169], v[46:47], s[6:7] op_sel_hi:[1,0]
	v_pk_add_f32 v[32:33], v[34:35], v[32:33]
	v_mov_b32_e32 v34, v171
	v_mov_b32_e32 v35, v168
	s_mov_b32 s29, s34
	v_pk_fma_f32 v[140:141], v[54:55], s[28:29], v[34:35] neg_lo:[1,0,0] neg_hi:[1,0,0]
	v_pk_fma_f32 v[34:35], v[54:55], s[28:29], v[34:35]
	s_mov_b32 s28, 0x3f52af12
	v_mov_b32_e32 v141, v35
	v_pk_mul_f32 v[34:35], v[62:63], s[26:27] op_sel_hi:[1,0]
	v_pk_add_f32 v[32:33], v[140:141], v[32:33] op_sel:[0,1] op_sel_hi:[1,0]
	v_pk_fma_f32 v[180:181], v[50:51], s[14:15], v[34:35] op_sel:[0,0,1] op_sel_hi:[1,0,0]
	v_mov_b32_e32 v141, v135
	v_mov_b32_e32 v140, v180
	v_pk_add_f32 v[36:37], v[140:141], v[36:37]
	v_pk_fma_f32 v[144:145], v[50:51], s[14:15], v[34:35] op_sel:[0,0,1] op_sel_hi:[1,0,0] neg_lo:[0,0,1] neg_hi:[0,0,1]
	v_pk_mul_f32 v[140:141], v[84:85], s[18:19] op_sel_hi:[1,0]
	v_pk_mul_f32 v[142:143], v[84:85], s[28:29] op_sel_hi:[1,0]
	v_mov_b32_e32 v34, v145
	v_mov_b32_e32 v35, v154
	v_pk_fma_f32 v[152:153], v[82:83], s[16:17], v[140:141] op_sel:[0,0,1] op_sel_hi:[1,0,0] neg_lo:[0,0,1] neg_hi:[0,0,1]
	v_pk_fma_f32 v[182:183], v[82:83], s[8:9], v[142:143] op_sel:[0,0,1] op_sel_hi:[1,0,0]
	v_pk_add_f32 v[34:35], v[34:35], v[32:33]
	v_mov_b32_e32 v32, v182
	v_mov_b32_e32 v33, v153
	v_pk_fma_f32 v[178:179], v[82:83], s[16:17], v[140:141] op_sel:[0,0,1] op_sel_hi:[1,0,0]
	v_pk_fma_f32 v[150:151], v[82:83], s[8:9], v[142:143] op_sel:[0,0,1] op_sel_hi:[1,0,0] neg_lo:[0,0,1] neg_hi:[0,0,1]
	v_pk_add_f32 v[32:33], v[32:33], v[36:37]
	v_mov_b32_e32 v36, v151
	v_mov_b32_e32 v37, v178
	v_pk_add_f32 v[34:35], v[36:37], v[34:35]
	v_pk_mul_f32 v[36:37], v[84:85], s[24:25] op_sel_hi:[1,0]
	v_pk_fma_f32 v[176:177], v[82:83], s[14:15], v[156:157] op_sel:[0,0,1] op_sel_hi:[1,0,0]
	v_pk_fma_f32 v[140:141], v[82:83], s[22:23], v[36:37] op_sel:[0,0,1] op_sel_hi:[1,0,0]
	v_pk_fma_f32 v[142:143], v[82:83], s[22:23], v[36:37] op_sel:[0,0,1] op_sel_hi:[1,0,0] neg_lo:[0,0,1] neg_hi:[0,0,1]
	v_mov_b32_e32 v36, v140
	v_mov_b32_e32 v37, v143
	v_pk_fma_f32 v[156:157], v[82:83], s[6:7], v[188:189] op_sel:[0,0,1] op_sel_hi:[1,0,0] neg_lo:[0,0,1] neg_hi:[0,0,1]
	v_pk_add_f32 v[36:37], v[36:37], v[0:1]
	v_mov_b32_e32 v0, v176
	v_mov_b32_e32 v1, v157
	s_movk_i32 s3, 0x70
	v_pk_add_f32 v[0:1], v[0:1], v[186:187]
	v_cmp_gt_u32_e32 vcc, s3, v28
	s_barrier
	s_and_saveexec_b64 s[26:27], vcc
	s_cbranch_execz .LBB0_13
; %bb.12:
	v_pk_add_f32 v[4:5], v[2:3], v[4:5]
	v_mov_b32_e32 v81, v111
	v_pk_add_f32 v[4:5], v[4:5], v[6:7]
	v_mov_b32_e32 v186, v133
	;; [unrolled: 2-line block ×4, first 2 shown]
	v_pk_add_f32 v[4:5], v[4:5], v[12:13]
	v_pk_add_f32 v[6:7], v[2:3], v[80:81]
	;; [unrolled: 1-line block ×3, first 2 shown]
	v_mov_b32_e32 v89, v113
	v_pk_add_f32 v[4:5], v[4:5], v[24:25]
	v_pk_add_f32 v[106:107], v[98:99], v[186:187] neg_lo:[0,1] neg_hi:[0,1]
	v_pk_add_f32 v[98:99], v[98:99], v[186:187]
	v_pk_add_f32 v[4:5], v[4:5], v[14:15]
	;; [unrolled: 1-line block ×3, first 2 shown]
	v_mov_b32_e32 v107, v99
	v_pk_add_f32 v[4:5], v[4:5], v[16:17]
	v_pk_add_f32 v[6:7], v[88:89], v[6:7]
	v_mov_b32_e32 v105, v123
	v_pk_add_f32 v[4:5], v[4:5], v[18:19]
	v_pk_add_f32 v[6:7], v[106:107], v[6:7]
	v_mov_b32_e32 v119, v177
	s_movk_i32 s3, 0x60
	v_pk_add_f32 v[4:5], v[4:5], v[20:21]
	v_pk_add_f32 v[6:7], v[104:105], v[6:7]
	v_mov_b32_e32 v132, v175
	v_mov_b32_e32 v133, v174
	;; [unrolled: 1-line block ×6, first 2 shown]
	v_mad_u32_u24 v56, v28, s3, v184
	v_pk_add_f32 v[4:5], v[4:5], v[74:75]
	v_pk_add_f32 v[6:7], v[118:119], v[6:7]
	v_mov_b32_e32 v91, v109
	v_pk_add_f32 v[100:101], v[116:117], v[174:175] neg_lo:[0,1] neg_hi:[0,1]
	v_pk_add_f32 v[108:109], v[116:117], v[174:175]
	v_mov_b32_e32 v97, v125
	ds_write2_b64 v56, v[4:5], v[6:7] offset1:1
	v_pk_add_f32 v[4:5], v[2:3], v[120:121]
	v_pk_add_f32 v[6:7], v[2:3], v[92:93]
	v_mov_b32_e32 v95, v115
	v_mov_b32_e32 v101, v109
	;; [unrolled: 1-line block ×3, first 2 shown]
	v_pk_add_f32 v[108:109], v[168:169], v[132:133] neg_lo:[0,1] neg_hi:[0,1]
	v_pk_add_f32 v[114:115], v[168:169], v[132:133]
	v_pk_add_f32 v[4:5], v[96:97], v[4:5]
	;; [unrolled: 1-line block ×3, first 2 shown]
	v_mov_b32_e32 v109, v115
	v_pk_add_f32 v[4:5], v[126:127], v[4:5]
	v_pk_add_f32 v[6:7], v[94:95], v[6:7]
	v_mov_b32_e32 v103, v139
	v_mov_b32_e32 v135, v155
	v_pk_add_f32 v[4:5], v[108:109], v[4:5]
	v_pk_add_f32 v[6:7], v[100:101], v[6:7]
	v_mov_b32_e32 v157, v147
	;; [unrolled: 4-line block ×3, first 2 shown]
	v_pk_add_f32 v[4:5], v[152:153], v[4:5]
	v_pk_add_f32 v[6:7], v[156:157], v[6:7]
	v_mov_b32_e32 v59, v57
	v_mov_b32_e32 v148, v173
	;; [unrolled: 1-line block ×4, first 2 shown]
	ds_write2_b64 v56, v[4:5], v[6:7] offset0:2 offset1:3
	v_pk_add_f32 v[4:5], v[2:3], v[130:131]
	v_pk_add_f32 v[6:7], v[2:3], v[58:59]
	v_mov_b32_e32 v65, v61
	v_mov_b32_e32 v137, v167
	v_pk_add_f32 v[158:159], v[170:171], v[148:149] neg_lo:[0,1] neg_hi:[0,1]
	v_pk_add_f32 v[148:149], v[170:171], v[148:149]
	v_pk_add_f32 v[4:5], v[128:129], v[4:5]
	;; [unrolled: 1-line block ×3, first 2 shown]
	v_mov_b32_e32 v69, v67
	v_mov_b32_e32 v159, v149
	v_pk_add_f32 v[4:5], v[136:137], v[4:5]
	v_pk_add_f32 v[6:7], v[68:69], v[6:7]
	v_mov_b32_e32 v73, v71
	v_mov_b32_e32 v145, v181
	v_pk_add_f32 v[4:5], v[158:159], v[4:5]
	v_pk_add_f32 v[6:7], v[72:73], v[6:7]
	;; [unrolled: 4-line block ×3, first 2 shown]
	v_mov_b32_e32 v143, v141
	v_pk_add_f32 v[4:5], v[150:151], v[4:5]
	v_pk_add_f32 v[6:7], v[142:143], v[6:7]
	ds_write2_b64 v56, v[4:5], v[6:7] offset0:4 offset1:5
	v_pk_mul_f32 v[4:5], v[44:45], s[20:21] op_sel_hi:[1,0]
	v_pk_mul_f32 v[6:7], v[48:49], s[18:19] op_sel_hi:[1,0]
	v_pk_fma_f32 v[16:17], v[38:39], s[14:15], v[4:5] op_sel:[0,0,1] op_sel_hi:[1,0,0] neg_lo:[0,0,1] neg_hi:[0,0,1]
	v_pk_fma_f32 v[4:5], v[38:39], s[14:15], v[4:5] op_sel:[0,0,1] op_sel_hi:[1,0,0]
	v_mov_b32_e32 v18, v16
	v_mov_b32_e32 v19, v5
	v_pk_fma_f32 v[20:21], v[40:41], s[16:17], v[6:7] op_sel:[0,0,1] op_sel_hi:[1,0,0] neg_lo:[0,0,1] neg_hi:[0,0,1]
	v_pk_fma_f32 v[6:7], v[40:41], s[16:17], v[6:7] op_sel:[0,0,1] op_sel_hi:[1,0,0]
	v_pk_mul_f32 v[8:9], v[52:53], s[10:11] op_sel_hi:[1,0]
	v_pk_add_f32 v[18:19], v[2:3], v[18:19]
	v_mov_b32_e32 v22, v20
	v_mov_b32_e32 v23, v7
	v_pk_add_f32 v[18:19], v[22:23], v[18:19]
	v_pk_fma_f32 v[22:23], v[42:43], s[6:7], v[8:9] op_sel:[0,0,1] op_sel_hi:[1,0,0] neg_lo:[0,0,1] neg_hi:[0,0,1]
	v_pk_fma_f32 v[8:9], v[42:43], s[6:7], v[8:9] op_sel:[0,0,1] op_sel_hi:[1,0,0]
	v_pk_mul_f32 v[10:11], v[54:55], s[28:29] op_sel_hi:[1,0]
	v_mov_b32_e32 v24, v22
	v_mov_b32_e32 v25, v9
	v_pk_add_f32 v[18:19], v[24:25], v[18:19]
	v_pk_fma_f32 v[24:25], v[46:47], s[8:9], v[10:11] op_sel:[0,0,1] op_sel_hi:[1,0,0] neg_lo:[0,0,1] neg_hi:[0,0,1]
	v_pk_fma_f32 v[10:11], v[46:47], s[8:9], v[10:11] op_sel:[0,0,1] op_sel_hi:[1,0,0]
	v_mov_b32_e32 v5, v17
	v_pk_mul_f32 v[12:13], v[62:63], s[24:25] op_sel_hi:[1,0]
	v_mov_b32_e32 v38, v24
	v_mov_b32_e32 v39, v11
	v_pk_add_f32 v[2:3], v[2:3], v[4:5]
	v_mov_b32_e32 v7, v21
	v_pk_add_f32 v[18:19], v[38:39], v[18:19]
	v_pk_fma_f32 v[38:39], v[50:51], s[22:23], v[12:13] op_sel:[0,0,1] op_sel_hi:[1,0,0] neg_lo:[0,0,1] neg_hi:[0,0,1]
	v_pk_fma_f32 v[12:13], v[50:51], s[22:23], v[12:13] op_sel:[0,0,1] op_sel_hi:[1,0,0]
	v_pk_add_f32 v[2:3], v[6:7], v[2:3]
	v_mov_b32_e32 v9, v23
	v_pk_mul_f32 v[14:15], v[84:85], s[12:13] op_sel_hi:[1,0]
	v_mov_b32_e32 v40, v38
	v_mov_b32_e32 v41, v13
	v_pk_add_f32 v[2:3], v[8:9], v[2:3]
	v_mov_b32_e32 v11, v25
	v_pk_add_f32 v[18:19], v[40:41], v[18:19]
	v_pk_fma_f32 v[40:41], v[82:83], s[2:3], v[14:15] op_sel:[0,0,1] op_sel_hi:[1,0,0] neg_lo:[0,0,1] neg_hi:[0,0,1]
	v_pk_fma_f32 v[14:15], v[82:83], s[2:3], v[14:15] op_sel:[0,0,1] op_sel_hi:[1,0,0]
	v_pk_add_f32 v[2:3], v[10:11], v[2:3]
	v_mov_b32_e32 v13, v39
	v_mov_b32_e32 v42, v40
	;; [unrolled: 1-line block ×3, first 2 shown]
	v_pk_add_f32 v[2:3], v[12:13], v[2:3]
	v_mov_b32_e32 v15, v41
	v_pk_add_f32 v[18:19], v[42:43], v[18:19]
	v_pk_add_f32 v[2:3], v[14:15], v[2:3]
	ds_write2_b64 v56, v[18:19], v[2:3] offset0:6 offset1:7
	v_mov_b32_e32 v2, v32
	v_mov_b32_e32 v3, v34
	ds_write2_b64 v56, v[36:37], v[2:3] offset0:8 offset1:9
	v_mov_b32_e32 v2, v31
	v_mov_b32_e32 v3, v1
	;; [unrolled: 1-line block ×4, first 2 shown]
	ds_write2_b64 v56, v[2:3], v[4:5] offset0:10 offset1:11
	v_mov_b32_e32 v2, v0
	v_mov_b32_e32 v3, v30
	ds_write_b64 v56, v[2:3] offset:96
.LBB0_13:
	s_or_b64 exec, exec, s[26:27]
	s_movk_i32 s2, 0x4f
	v_mul_lo_u16_sdwa v2, v28, s2 dst_sel:DWORD dst_unused:UNUSED_PAD src0_sel:BYTE_0 src1_sel:DWORD
	v_lshrrev_b16_e32 v41, 10, v2
	v_add_u32_e32 v40, 0xb6, v28
	v_mul_lo_u16_e32 v2, 13, v41
	s_movk_i32 s2, 0x4ec5
	v_sub_u16_e32 v45, v28, v2
	v_mul_u32_u24_sdwa v2, v40, s2 dst_sel:DWORD dst_unused:UNUSED_PAD src0_sel:WORD_0 src1_sel:DWORD
	v_lshrrev_b32_e32 v44, 18, v2
	v_mul_lo_u16_e32 v2, 13, v44
	v_sub_u16_e32 v47, v40, v2
	v_mul_u32_u24_e32 v2, 3, v47
	v_mov_b32_e32 v46, 3
	v_lshlrev_b32_e32 v6, 3, v2
	s_waitcnt lgkmcnt(0)
	s_barrier
	global_load_dwordx2 v[38:39], v6, s[4:5] offset:16
	global_load_dwordx4 v[2:5], v6, s[4:5]
	v_mul_u32_u24_sdwa v6, v45, v46 dst_sel:DWORD dst_unused:UNUSED_PAD src0_sel:BYTE_0 src1_sel:DWORD
	v_lshlrev_b32_e32 v10, 3, v6
	global_load_dwordx4 v[6:9], v10, s[4:5]
	global_load_dwordx2 v[42:43], v10, s[4:5] offset:16
	v_add_u32_e32 v18, 0xa00, v184
	v_add_u32_e32 v22, 0x1600, v184
	ds_read2_b64 v[10:13], v185 offset0:68 offset1:250
	ds_read2_b64 v[14:17], v184 offset1:182
	ds_read2_b64 v[18:21], v18 offset0:44 offset1:226
	ds_read2_b64 v[22:25], v22 offset0:24 offset1:206
	v_mul_u32_u24_e32 v41, 0x1a0, v41
	v_mul_u32_u24_e32 v48, 0x1a0, v44
	v_lshlrev_b32_sdwa v45, v46, v45 dst_sel:DWORD dst_unused:UNUSED_PAD src0_sel:DWORD src1_sel:BYTE_0
	v_lshlrev_b32_e32 v47, 3, v47
	s_waitcnt lgkmcnt(3)
	v_mov_b32_e32 v44, v13
	s_waitcnt lgkmcnt(1)
	v_mov_b32_e32 v46, v21
	v_add3_u32 v41, 0, v41, v45
	v_add3_u32 v45, 0, v48, v47
	v_add_u32_e32 v60, 0x1a00, v184
	s_waitcnt lgkmcnt(0)
	s_barrier
	v_cmp_gt_u32_e32 vcc, 26, v28
	v_cmp_lt_u32_e64 s[2:3], 25, v28
	s_waitcnt vmcnt(3)
	v_pk_mul_f32 v[52:53], v[38:39], v[12:13] op_sel_hi:[1,0]
	s_waitcnt vmcnt(2)
	v_pk_mul_f32 v[48:49], v[2:3], v[20:21] op_sel_hi:[1,0]
	v_pk_mul_f32 v[50:51], v[4:5], v[24:25] op_sel:[0,1]
	s_waitcnt vmcnt(1)
	v_pk_mul_f32 v[54:55], v[6:7], v[18:19] op_sel:[0,1]
	v_pk_mul_f32 v[56:57], v[8:9], v[22:23] op_sel:[0,1]
	s_waitcnt vmcnt(0)
	v_pk_mul_f32 v[58:59], v[42:43], v[10:11] op_sel:[0,1]
	v_pk_fma_f32 v[46:47], v[2:3], v[46:47], v[48:49] op_sel:[0,0,1] op_sel_hi:[1,1,0]
	v_pk_fma_f32 v[2:3], v[2:3], v[20:21], v[48:49] op_sel:[0,1,1] op_sel_hi:[1,1,0] neg_lo:[1,0,0] neg_hi:[1,0,0]
	v_pk_fma_f32 v[20:21], v[4:5], v[24:25], v[50:51] op_sel:[0,0,1] op_sel_hi:[1,1,0] neg_lo:[0,0,1] neg_hi:[0,0,1]
	v_pk_fma_f32 v[4:5], v[4:5], v[24:25], v[50:51] op_sel:[0,0,1] op_sel_hi:[1,0,0]
	v_pk_fma_f32 v[24:25], v[38:39], v[44:45], v[52:53] op_sel:[0,0,1] op_sel_hi:[1,1,0]
	v_pk_fma_f32 v[12:13], v[38:39], v[12:13], v[52:53] op_sel:[0,1,1] op_sel_hi:[1,1,0] neg_lo:[1,0,0] neg_hi:[1,0,0]
	v_pk_fma_f32 v[38:39], v[6:7], v[18:19], v[54:55] op_sel:[0,0,1] op_sel_hi:[1,1,0] neg_lo:[0,0,1] neg_hi:[0,0,1]
	v_pk_fma_f32 v[6:7], v[6:7], v[18:19], v[54:55] op_sel:[0,0,1] op_sel_hi:[1,0,0]
	v_pk_fma_f32 v[18:19], v[8:9], v[22:23], v[56:57] op_sel:[0,0,1] op_sel_hi:[1,1,0] neg_lo:[0,0,1] neg_hi:[0,0,1]
	v_pk_fma_f32 v[8:9], v[8:9], v[22:23], v[56:57] op_sel:[0,0,1] op_sel_hi:[1,0,0]
	;; [unrolled: 2-line block ×3, first 2 shown]
	v_mov_b32_e32 v47, v3
	v_mov_b32_e32 v21, v5
	;; [unrolled: 1-line block ×6, first 2 shown]
	v_pk_add_f32 v[2:3], v[16:17], v[20:21] neg_lo:[0,1] neg_hi:[0,1]
	v_pk_add_f32 v[6:7], v[46:47], v[24:25] neg_lo:[0,1] neg_hi:[0,1]
	;; [unrolled: 1-line block ×5, first 2 shown]
	v_pk_add_f32 v[12:13], v[2:3], v[6:7]
	v_pk_fma_f32 v[16:17], v[16:17], 2.0, v[2:3] op_sel_hi:[1,0,1] neg_lo:[0,0,1] neg_hi:[0,0,1]
	v_pk_fma_f32 v[6:7], v[46:47], 2.0, v[6:7] op_sel_hi:[1,0,1] neg_lo:[0,0,1] neg_hi:[0,0,1]
	;; [unrolled: 1-line block ×4, first 2 shown]
	v_pk_add_f32 v[20:21], v[8:9], v[10:11] op_sel:[0,1] op_sel_hi:[1,0] neg_lo:[0,1] neg_hi:[0,1]
	v_pk_add_f32 v[10:11], v[8:9], v[10:11] op_sel:[0,1] op_sel_hi:[1,0]
	v_mov_b32_e32 v5, v13
	v_pk_add_f32 v[6:7], v[16:17], v[6:7] op_sel:[0,1] op_sel_hi:[1,0] neg_lo:[0,1] neg_hi:[0,1]
	v_pk_add_f32 v[12:13], v[14:15], v[18:19] neg_lo:[0,1] neg_hi:[0,1]
	v_mov_b32_e32 v21, v11
	v_pk_fma_f32 v[10:11], v[16:17], 2.0, v[6:7] op_sel_hi:[1,0,1] neg_lo:[0,0,1] neg_hi:[0,0,1]
	v_pk_fma_f32 v[14:15], v[14:15], 2.0, v[12:13] op_sel_hi:[1,0,1] neg_lo:[0,0,1] neg_hi:[0,0,1]
	;; [unrolled: 1-line block ×3, first 2 shown]
	ds_write2_b64 v41, v[12:13], v[20:21] offset0:26 offset1:39
	v_pk_fma_f32 v[2:3], v[2:3], 2.0, v[4:5] op_sel_hi:[1,0,1] neg_lo:[0,0,1] neg_hi:[0,0,1]
	ds_write2_b64 v41, v[14:15], v[8:9] offset1:13
	ds_write2_b64 v45, v[10:11], v[2:3] offset1:13
	ds_write2_b64 v45, v[6:7], v[4:5] offset0:26 offset1:39
	s_waitcnt lgkmcnt(0)
	s_barrier
	ds_read2_b64 v[8:11], v184 offset1:208
	ds_read2_b64 v[12:15], v29 offset0:32 offset1:240
	ds_read2_b64 v[16:19], v60 offset1:208
	ds_read_b64 v[38:39], v184 offset:9984
                                        ; implicit-def: $vgpr24_vgpr25
                                        ; implicit-def: $vgpr22_vgpr23
                                        ; implicit-def: $vgpr20_vgpr21
	s_and_saveexec_b64 s[6:7], s[2:3]
	s_xor_b64 s[2:3], exec, s[6:7]
; %bb.14:
	v_mov_b64_e32 v[24:25], v[0:1]
	v_mov_b64_e32 v[22:23], v[30:31]
	;; [unrolled: 1-line block ×3, first 2 shown]
; %bb.15:
	s_andn2_saveexec_b64 s[2:3], s[2:3]
	s_cbranch_execz .LBB0_17
; %bb.16:
	v_add_u32_e32 v1, 0x1000, v184
	v_add_u32_e32 v0, 0x500, v184
	ds_read2_b32 v[30:31], v1 offset0:172 offset1:173
	v_add_u32_e32 v1, 0x1800, v184
	ds_read2_b64 v[42:45], v1 offset0:38 offset1:246
	ds_read2_b64 v[4:7], v0 offset0:22 offset1:230
	v_add_u32_e32 v0, 0x2600, v184
	ds_read2_b64 v[0:3], v0 offset0:6 offset1:214
	s_waitcnt lgkmcnt(3)
	v_mov_b32_e32 v20, v31
	s_waitcnt lgkmcnt(2)
	v_mov_b32_e32 v21, v44
	v_mov_b32_e32 v32, v30
	;; [unrolled: 1-line block ×3, first 2 shown]
	s_waitcnt lgkmcnt(0)
	v_mov_b32_e32 v22, v1
	v_mov_b32_e32 v23, v42
	;; [unrolled: 1-line block ×11, first 2 shown]
.LBB0_17:
	s_or_b64 exec, exec, s[2:3]
	s_movk_i32 s2, 0x4f
	v_mul_lo_u16_sdwa v6, v28, s2 dst_sel:DWORD dst_unused:UNUSED_PAD src0_sel:BYTE_0 src1_sel:DWORD
	v_lshrrev_b16_e32 v29, 12, v6
	v_mul_lo_u16_e32 v6, 52, v29
	v_sub_u16_e32 v41, v28, v6
	v_mov_b32_e32 v6, 6
	v_mul_u32_u24_sdwa v6, v41, v6 dst_sel:DWORD dst_unused:UNUSED_PAD src0_sel:BYTE_0 src1_sel:DWORD
	v_lshlrev_b32_e32 v6, 3, v6
	global_load_dwordx4 v[42:45], v6, s[4:5] offset:312
	global_load_dwordx4 v[46:49], v6, s[4:5] offset:328
	;; [unrolled: 1-line block ×3, first 2 shown]
	v_mov_b32_e32 v61, 3
	v_mul_u32_u24_e32 v29, 0xb60, v29
	v_lshlrev_b32_sdwa v41, v61, v41 dst_sel:DWORD dst_unused:UNUSED_PAD src0_sel:DWORD src1_sel:BYTE_0
	s_waitcnt lgkmcnt(2)
	v_mov_b32_e32 v6, v13
	v_mov_b32_e32 v54, v12
	s_waitcnt lgkmcnt(1)
	v_mov_b32_e32 v55, v17
	v_mov_b32_e32 v56, v18
	;; [unrolled: 1-line block ×5, first 2 shown]
	v_add3_u32 v29, 0, v29, v41
	v_mov_b32_e32 v7, v16
	v_mov_b32_e32 v58, v19
	s_waitcnt lgkmcnt(0)
	v_mov_b32_e32 v62, v39
	s_mov_b32 s6, 0x3eae86e6
	s_mov_b32 s7, 0xbf08b237
	;; [unrolled: 1-line block ×10, first 2 shown]
	s_barrier
	s_mov_b32 s10, 0x3f5ff5aa
	s_mov_b32 s14, 0x3f3bfb3b
	s_waitcnt vmcnt(2)
	v_mul_f32_e32 v41, v45, v13
	s_waitcnt vmcnt(1)
	v_mul_f32_e32 v13, v46, v15
	v_mul_f32_e32 v15, v47, v14
	;; [unrolled: 1-line block ×4, first 2 shown]
	s_waitcnt vmcnt(0)
	v_mul_f32_e32 v14, v51, v19
	v_pk_mul_f32 v[64:65], v[42:43], v[10:11] op_sel_hi:[1,0]
	v_mov_b32_e32 v67, v48
	v_mov_b32_e32 v48, v45
	v_mov_b32_e32 v69, v46
	v_mov_b32_e32 v46, v51
	v_mov_b32_e32 v66, v44
	v_mov_b32_e32 v68, v50
	v_pk_mul_f32 v[70:71], v[52:53], v[38:39] op_sel_hi:[1,0]
	v_fma_f32 v14, v50, v18, -v14
	v_pk_fma_f32 v[18:19], v[42:43], v[60:61], v[64:65] op_sel:[0,0,1] op_sel_hi:[1,1,0]
	v_pk_fma_f32 v[10:11], v[42:43], v[10:11], v[64:65] op_sel:[0,1,1] op_sel_hi:[1,1,0] neg_lo:[1,0,0] neg_hi:[1,0,0]
	v_pk_mul_f32 v[42:43], v[48:49], v[54:55]
	v_pk_mul_f32 v[46:47], v[46:47], v[56:57]
	v_fma_f32 v12, v44, v12, -v41
	v_pk_fma_f32 v[48:49], v[52:53], v[62:63], v[70:71] op_sel:[0,0,1] op_sel_hi:[1,1,0]
	v_pk_fma_f32 v[38:39], v[52:53], v[38:39], v[70:71] op_sel:[0,1,1] op_sel_hi:[1,1,0] neg_lo:[1,0,0] neg_hi:[1,0,0]
	v_pk_fma_f32 v[44:45], v[44:45], v[6:7], v[42:43]
	v_pk_fma_f32 v[6:7], v[66:67], v[6:7], v[42:43] neg_lo:[0,0,1] neg_hi:[0,0,1]
	v_pk_fma_f32 v[42:43], v[50:51], v[58:59], v[46:47]
	v_pk_fma_f32 v[46:47], v[68:69], v[58:59], v[46:47] neg_lo:[0,0,1] neg_hi:[0,0,1]
	v_mov_b32_e32 v19, v11
	v_mov_b32_e32 v49, v39
	;; [unrolled: 1-line block ×6, first 2 shown]
	v_pk_add_f32 v[52:53], v[12:13], v[14:15]
	v_mov_b32_e32 v13, v14
	v_pk_add_f32 v[14:15], v[18:19], v[48:49]
	v_pk_add_f32 v[16:17], v[16:17], v[60:61]
	v_mov_b32_e32 v6, v47
	v_pk_add_f32 v[46:47], v[44:45], v[42:43]
	v_mov_b32_e32 v11, v12
	v_mov_b32_e32 v12, v53
	v_mov_b32_e32 v38, v7
	v_mov_b32_e32 v10, v17
	v_mov_b32_e32 v39, v14
	v_mov_b32_e32 v7, v46
	v_pk_add_f32 v[18:19], v[18:19], v[48:49] neg_lo:[0,1] neg_hi:[0,1]
	v_pk_add_f32 v[50:51], v[52:53], v[16:17]
	v_pk_add_f32 v[10:11], v[10:11], v[12:13] neg_lo:[0,1] neg_hi:[0,1]
	v_pk_add_f32 v[6:7], v[6:7], v[38:39]
	v_pk_add_f32 v[42:43], v[44:45], v[42:43] neg_lo:[0,1] neg_hi:[0,1]
	v_mov_b32_e32 v49, v19
	v_mov_b32_e32 v55, v14
	;; [unrolled: 1-line block ×7, first 2 shown]
	v_pk_add_f32 v[48:49], v[48:49], v[42:43] neg_lo:[0,1] neg_hi:[0,1]
	v_pk_add_f32 v[54:55], v[54:55], v[52:53] neg_lo:[0,1] neg_hi:[0,1]
	v_mov_b32_e32 v17, v51
	v_mov_b32_e32 v56, v6
	;; [unrolled: 1-line block ×3, first 2 shown]
	v_pk_add_f32 v[6:7], v[50:51], v[6:7]
	v_pk_add_f32 v[12:13], v[44:45], v[10:11] neg_lo:[0,1] neg_hi:[0,1]
	v_pk_add_f32 v[44:45], v[42:43], v[10:11]
	v_pk_mul_f32 v[48:49], v[48:49], s[8:9]
	v_pk_add_f32 v[56:57], v[16:17], v[56:57] neg_lo:[0,1] neg_hi:[0,1]
	v_pk_add_f32 v[8:9], v[6:7], v[8:9]
	v_pk_mul_f32 v[50:51], v[54:55], s[12:13]
	v_pk_mul_f32 v[38:39], v[12:13], s[6:7]
	v_pk_add_f32 v[44:45], v[44:45], v[18:19]
	v_pk_mul_f32 v[54:55], v[56:57], s[18:19]
	v_pk_fma_f32 v[6:7], v[6:7], s[16:17], v[8:9] op_sel_hi:[1,0,1]
	v_pk_fma_f32 v[56:57], v[56:57], s[18:19], v[50:51]
	v_pk_fma_f32 v[12:13], v[12:13], s[6:7], v[48:49]
	v_pk_add_f32 v[56:57], v[56:57], v[6:7]
	v_pk_fma_f32 v[12:13], v[44:45], s[2:3], v[12:13] op_sel_hi:[1,0,1]
	v_mov_b32_e32 v43, v11
	v_pk_add_f32 v[58:59], v[56:57], v[12:13]
	v_pk_add_f32 v[12:13], v[56:57], v[12:13] neg_lo:[0,1] neg_hi:[0,1]
	v_mov_b32_e32 v56, v58
	v_mov_b32_e32 v57, v13
	;; [unrolled: 1-line block ×4, first 2 shown]
	ds_write2_b64 v29, v[8:9], v[56:57] offset1:52
	v_pk_add_f32 v[8:9], v[42:43], v[18:19] neg_lo:[0,1] neg_hi:[0,1]
	v_pk_add_f32 v[10:11], v[52:53], v[16:17] neg_lo:[0,1] neg_hi:[0,1]
	v_mov_b32_e32 v14, v54
	v_mov_b32_e32 v15, v51
	;; [unrolled: 1-line block ×6, first 2 shown]
	v_pk_fma_f32 v[14:15], v[10:11], s[14:15], v[14:15] op_sel_hi:[1,0,1] neg_lo:[1,0,1] neg_hi:[1,0,1]
	v_pk_fma_f32 v[16:17], v[8:9], s[10:11], v[16:17] op_sel_hi:[1,0,1] neg_lo:[1,0,1] neg_hi:[1,0,1]
	;; [unrolled: 1-line block ×4, first 2 shown]
	v_pk_add_f32 v[14:15], v[14:15], v[6:7]
	v_pk_fma_f32 v[16:17], v[44:45], s[2:3], v[16:17] op_sel_hi:[1,0,1]
	v_pk_add_f32 v[6:7], v[10:11], v[6:7]
	v_pk_fma_f32 v[8:9], v[44:45], s[2:3], v[8:9] op_sel_hi:[1,0,1]
	v_pk_add_f32 v[18:19], v[14:15], v[16:17]
	v_pk_add_f32 v[14:15], v[14:15], v[16:17] neg_lo:[0,1] neg_hi:[0,1]
	v_pk_add_f32 v[10:11], v[6:7], v[8:9] neg_lo:[0,1] neg_hi:[0,1]
	v_pk_add_f32 v[6:7], v[6:7], v[8:9]
	v_mov_b32_e32 v16, v18
	v_mov_b32_e32 v17, v15
	;; [unrolled: 1-line block ×4, first 2 shown]
	ds_write2_b64 v29, v[16:17], v[8:9] offset0:104 offset1:156
	v_mov_b32_e32 v7, v11
	v_mov_b32_e32 v15, v19
	v_add_u32_e32 v8, 0x400, v29
	v_mov_b32_e32 v13, v59
	ds_write2_b64 v8, v[6:7], v[14:15] offset0:80 offset1:132
	ds_write_b64 v29, v[12:13] offset:2496
	s_and_saveexec_b64 s[20:21], vcc
	s_cbranch_execz .LBB0_19
; %bb.18:
	s_movk_i32 s3, 0x4ec5
	v_mul_u32_u24_sdwa v6, v40, s3 dst_sel:DWORD dst_unused:UNUSED_PAD src0_sel:WORD_0 src1_sel:DWORD
	v_lshrrev_b32_e32 v6, 20, v6
	v_mul_lo_u16_e32 v6, 52, v6
	v_sub_u16_e32 v19, v40, v6
	v_mul_u32_u24_e32 v6, 6, v19
	v_lshlrev_b32_e32 v18, 3, v6
	global_load_dwordx4 v[6:9], v18, s[4:5] offset:312
	global_load_dwordx4 v[10:13], v18, s[4:5] offset:344
	;; [unrolled: 1-line block ×3, first 2 shown]
	v_lshl_add_u32 v29, v19, 3, 0
	v_mov_b32_e32 v18, v37
	v_mov_b32_e32 v38, v3
	v_mov_b32_e32 v40, v37
	v_add_u32_e32 v39, 0x2000, v29
	s_waitcnt vmcnt(2)
	v_pk_mul_f32 v[36:37], v[36:37], v[6:7] op_sel_hi:[0,1]
	s_waitcnt vmcnt(1)
	v_pk_mul_f32 v[2:3], v[2:3], v[12:13] op_sel_hi:[0,1]
	v_mov_b32_e32 v44, v9
	s_waitcnt vmcnt(0)
	v_mov_b32_e32 v45, v17
	v_mov_b32_e32 v48, v11
	;; [unrolled: 1-line block ×3, first 2 shown]
	v_mul_f32_e32 v19, v34, v9
	v_mul_f32_e32 v41, v30, v11
	v_mov_b32_e32 v42, v8
	v_mov_b32_e32 v43, v16
	;; [unrolled: 1-line block ×4, first 2 shown]
	v_mul_f32_e32 v15, v31, v15
	v_mul_f32_e32 v31, v1, v14
	;; [unrolled: 1-line block ×4, first 2 shown]
	v_pk_mul_f32 v[34:35], v[32:33], v[44:45]
	v_pk_mul_f32 v[24:25], v[24:25], v[48:49]
	v_fma_f32 v30, v32, v8, -v19
	v_pk_fma_f32 v[32:33], v[38:39], v[12:13], v[2:3] op_sel:[0,0,1] op_sel_hi:[0,1,0]
	v_pk_fma_f32 v[2:3], v[38:39], v[12:13], v[2:3] op_sel:[0,0,1] op_sel_hi:[0,1,0] neg_lo:[1,0,0] neg_hi:[1,0,0]
	v_pk_fma_f32 v[12:13], v[18:19], v[6:7], v[36:37] op_sel:[0,0,1] op_sel_hi:[1,1,0]
	v_pk_fma_f32 v[6:7], v[40:41], v[6:7], v[36:37] op_sel:[0,0,1] op_sel_hi:[0,1,0] neg_lo:[1,0,0] neg_hi:[1,0,0]
	v_fma_f32 v14, v0, v10, -v41
	v_pk_fma_f32 v[10:11], v[22:23], v[10:11], v[24:25]
	v_pk_fma_f32 v[22:23], v[22:23], v[46:47], v[24:25] neg_lo:[0,0,1] neg_hi:[0,0,1]
	v_pk_fma_f32 v[8:9], v[20:21], v[8:9], v[34:35]
	v_pk_fma_f32 v[20:21], v[20:21], v[42:43], v[34:35] neg_lo:[0,0,1] neg_hi:[0,0,1]
	v_mov_b32_e32 v16, v7
	v_mov_b32_e32 v0, v3
	v_pk_add_f32 v[18:19], v[30:31], v[14:15]
	v_mov_b32_e32 v33, v3
	v_mov_b32_e32 v13, v7
	;; [unrolled: 1-line block ×4, first 2 shown]
	v_pk_add_f32 v[0:1], v[16:17], v[0:1]
	v_mov_b32_e32 v3, v30
	v_mov_b32_e32 v7, v14
	v_pk_add_f32 v[14:15], v[12:13], v[32:33]
	v_mov_b32_e32 v6, v19
	v_mov_b32_e32 v16, v23
	v_pk_add_f32 v[22:23], v[8:9], v[10:11]
	v_mov_b32_e32 v2, v1
	v_pk_add_f32 v[12:13], v[12:13], v[32:33] neg_lo:[0,1] neg_hi:[0,1]
	v_mov_b32_e32 v20, v21
	v_mov_b32_e32 v21, v14
	v_pk_add_f32 v[2:3], v[2:3], v[6:7] neg_lo:[0,1] neg_hi:[0,1]
	v_mov_b32_e32 v17, v22
	v_pk_add_f32 v[8:9], v[8:9], v[10:11] neg_lo:[0,1] neg_hi:[0,1]
	v_mov_b32_e32 v11, v13
	v_pk_add_f32 v[30:31], v[18:19], v[0:1]
	v_mov_b32_e32 v10, v2
	v_pk_add_f32 v[16:17], v[16:17], v[20:21]
	v_mov_b32_e32 v24, v12
	v_mov_b32_e32 v25, v9
	;; [unrolled: 1-line block ×4, first 2 shown]
	v_pk_add_f32 v[10:11], v[10:11], v[8:9] neg_lo:[0,1] neg_hi:[0,1]
	v_pk_add_f32 v[30:31], v[30:31], v[16:17]
	v_mov_b32_e32 v17, v22
	v_pk_add_f32 v[6:7], v[8:9], v[2:3]
	v_pk_add_f32 v[24:25], v[24:25], v[2:3] neg_lo:[0,1] neg_hi:[0,1]
	v_mov_b32_e32 v9, v3
	v_pk_mul_f32 v[2:3], v[10:11], s[8:9]
	v_pk_add_f32 v[10:11], v[0:1], v[16:17] neg_lo:[0,1] neg_hi:[0,1]
	v_mov_b32_e32 v17, v14
	v_mov_b32_e32 v1, v14
	v_pk_add_f32 v[14:15], v[16:17], v[18:19] neg_lo:[0,1] neg_hi:[0,1]
	v_pk_add_f32 v[4:5], v[4:5], v[30:31]
	v_pk_mul_f32 v[14:15], v[14:15], s[12:13]
	v_pk_add_f32 v[6:7], v[6:7], v[12:13]
	v_pk_mul_f32 v[20:21], v[24:25], s[6:7]
	v_pk_add_f32 v[8:9], v[8:9], v[12:13] neg_lo:[0,1] neg_hi:[0,1]
	v_pk_mul_f32 v[12:13], v[10:11], s[18:19]
	v_pk_fma_f32 v[16:17], v[30:31], s[16:17], v[4:5] op_sel_hi:[1,0,1]
	v_pk_fma_f32 v[24:25], v[24:25], s[6:7], v[2:3]
	v_pk_fma_f32 v[10:11], v[10:11], s[18:19], v[14:15]
	v_mov_b32_e32 v19, v22
	v_pk_fma_f32 v[22:23], v[6:7], s[2:3], v[24:25] op_sel_hi:[1,0,1]
	v_pk_add_f32 v[10:11], v[10:11], v[16:17]
	v_pk_add_f32 v[0:1], v[18:19], v[0:1] neg_lo:[0,1] neg_hi:[0,1]
	v_pk_add_f32 v[18:19], v[10:11], v[22:23]
	v_pk_add_f32 v[10:11], v[10:11], v[22:23] neg_lo:[0,1] neg_hi:[0,1]
	v_mov_b32_e32 v22, v18
	v_mov_b32_e32 v23, v11
	v_mov_b32_e32 v24, v12
	v_mov_b32_e32 v25, v15
	ds_write2_b64 v39, v[4:5], v[22:23] offset0:68 offset1:120
	v_mov_b32_e32 v22, v20
	v_mov_b32_e32 v23, v3
	;; [unrolled: 1-line block ×4, first 2 shown]
	v_pk_fma_f32 v[4:5], v[0:1], s[14:15], v[24:25] op_sel_hi:[1,0,1] neg_lo:[1,0,1] neg_hi:[1,0,1]
	v_pk_fma_f32 v[22:23], v[8:9], s[10:11], v[22:23] op_sel_hi:[1,0,1] neg_lo:[1,0,1] neg_hi:[1,0,1]
	;; [unrolled: 1-line block ×4, first 2 shown]
	v_pk_add_f32 v[4:5], v[4:5], v[16:17]
	v_pk_fma_f32 v[22:23], v[6:7], s[2:3], v[22:23] op_sel_hi:[1,0,1]
	v_pk_fma_f32 v[2:3], v[6:7], s[2:3], v[2:3] op_sel_hi:[1,0,1]
	v_pk_add_f32 v[0:1], v[0:1], v[16:17]
	v_pk_add_f32 v[24:25], v[4:5], v[22:23]
	v_pk_add_f32 v[4:5], v[4:5], v[22:23] neg_lo:[0,1] neg_hi:[0,1]
	v_pk_add_f32 v[6:7], v[0:1], v[2:3] neg_lo:[0,1] neg_hi:[0,1]
	v_pk_add_f32 v[0:1], v[0:1], v[2:3]
	v_mov_b32_e32 v22, v24
	v_mov_b32_e32 v23, v5
	;; [unrolled: 1-line block ×4, first 2 shown]
	ds_write2_b64 v39, v[22:23], v[2:3] offset0:172 offset1:224
	v_mov_b32_e32 v1, v7
	v_mov_b32_e32 v5, v25
	v_add_u32_e32 v2, 0x2800, v29
	v_mov_b32_e32 v11, v19
	ds_write2_b64 v2, v[0:1], v[4:5] offset0:20 offset1:72
	ds_write_b64 v29, v[10:11] offset:11232
.LBB0_19:
	s_or_b64 exec, exec, s[20:21]
	v_mov_b32_e32 v29, 0
	v_lshl_add_u64 v[16:17], v[28:29], 3, s[4:5]
	s_movk_i32 s2, 0x1000
	v_add_co_u32_e32 v20, vcc, s2, v16
	s_waitcnt lgkmcnt(0)
	s_barrier
	global_load_dwordx2 v[18:19], v[16:17], off offset:2808
	v_addc_co_u32_e32 v21, vcc, 0, v17, vcc
	global_load_dwordx2 v[22:23], v[20:21], off offset:168
	v_add_u32_e32 v38, 0x1600, v184
	ds_read2_b64 v[0:3], v184 offset1:182
	v_add_u32_e32 v39, 0xa00, v184
	v_add_u32_e32 v40, 0x2000, v184
	ds_read2_b64 v[4:7], v38 offset0:24 offset1:206
	ds_read2_b64 v[8:11], v39 offset0:44 offset1:226
	;; [unrolled: 1-line block ×3, first 2 shown]
	s_movk_i32 s2, 0x2000
	v_add_co_u32_e32 v16, vcc, s2, v16
	s_waitcnt lgkmcnt(0)
	s_nop 0
	v_addc_co_u32_e32 v17, vcc, 0, v17, vcc
	s_barrier
	s_add_u32 s2, s4, 0x2d18
	s_addc_u32 s3, s5, 0
	v_cmp_ne_u32_e32 vcc, 0, v28
	s_waitcnt vmcnt(1)
	v_pk_mul_f32 v[24:25], v[18:19], v[4:5] op_sel:[0,1]
	v_pk_mul_f32 v[30:31], v[18:19], v[12:13] op_sel:[0,1]
	v_pk_fma_f32 v[32:33], v[18:19], v[4:5], v[24:25] op_sel:[0,0,1] op_sel_hi:[1,1,0] neg_lo:[0,0,1] neg_hi:[0,0,1]
	v_pk_fma_f32 v[4:5], v[18:19], v[4:5], v[24:25] op_sel:[0,0,1] op_sel_hi:[1,0,0]
	s_waitcnt vmcnt(0)
	v_pk_mul_f32 v[24:25], v[22:23], v[6:7] op_sel:[0,1]
	v_pk_fma_f32 v[34:35], v[18:19], v[12:13], v[30:31] op_sel:[0,0,1] op_sel_hi:[1,1,0] neg_lo:[0,0,1] neg_hi:[0,0,1]
	v_pk_fma_f32 v[12:13], v[18:19], v[12:13], v[30:31] op_sel:[0,0,1] op_sel_hi:[1,0,0]
	v_pk_mul_f32 v[18:19], v[22:23], v[14:15] op_sel:[0,1]
	v_mov_b32_e32 v33, v5
	v_pk_fma_f32 v[4:5], v[22:23], v[6:7], v[24:25] op_sel:[0,0,1] op_sel_hi:[1,1,0] neg_lo:[0,0,1] neg_hi:[0,0,1]
	v_pk_fma_f32 v[6:7], v[22:23], v[6:7], v[24:25] op_sel:[0,0,1] op_sel_hi:[1,0,0]
	v_mov_b32_e32 v35, v13
	v_pk_fma_f32 v[12:13], v[22:23], v[14:15], v[18:19] op_sel:[0,0,1] op_sel_hi:[1,1,0] neg_lo:[0,0,1] neg_hi:[0,0,1]
	v_pk_fma_f32 v[14:15], v[22:23], v[14:15], v[18:19] op_sel:[0,0,1] op_sel_hi:[1,0,0]
	v_mov_b32_e32 v5, v7
	v_mov_b32_e32 v13, v15
	v_pk_add_f32 v[18:19], v[0:1], v[32:33] neg_lo:[0,1] neg_hi:[0,1]
	v_pk_add_f32 v[6:7], v[8:9], v[34:35] neg_lo:[0,1] neg_hi:[0,1]
	;; [unrolled: 1-line block ×4, first 2 shown]
	v_pk_fma_f32 v[0:1], v[0:1], 2.0, v[18:19] op_sel_hi:[1,0,1] neg_lo:[0,0,1] neg_hi:[0,0,1]
	v_pk_fma_f32 v[8:9], v[8:9], 2.0, v[6:7] op_sel_hi:[1,0,1] neg_lo:[0,0,1] neg_hi:[0,0,1]
	v_pk_fma_f32 v[2:3], v[2:3], 2.0, v[4:5] op_sel_hi:[1,0,1] neg_lo:[0,0,1] neg_hi:[0,0,1]
	v_pk_fma_f32 v[10:11], v[10:11], 2.0, v[12:13] op_sel_hi:[1,0,1] neg_lo:[0,0,1] neg_hi:[0,0,1]
	ds_write2_b64 v39, v[18:19], v[4:5] offset0:44 offset1:226
	ds_write2_b64 v40, v[6:7], v[12:13] offset0:68 offset1:250
	ds_write2_b64 v184, v[0:1], v[2:3] offset1:182
	ds_write2_b64 v38, v[8:9], v[10:11] offset0:24 offset1:206
	s_waitcnt lgkmcnt(0)
	s_barrier
	global_load_dwordx2 v[18:19], v[20:21], off offset:1624
	global_load_dwordx2 v[22:23], v[20:21], off offset:3080
	;; [unrolled: 1-line block ×4, first 2 shown]
	ds_read2_b64 v[0:3], v184 offset1:182
	ds_read2_b64 v[4:7], v38 offset0:24 offset1:206
	ds_read2_b64 v[8:11], v39 offset0:44 offset1:226
	;; [unrolled: 1-line block ×3, first 2 shown]
	s_waitcnt lgkmcnt(0)
	s_barrier
	s_waitcnt vmcnt(3)
	v_pk_mul_f32 v[16:17], v[18:19], v[4:5] op_sel:[0,1]
	s_waitcnt vmcnt(2)
	v_pk_mul_f32 v[20:21], v[22:23], v[6:7] op_sel:[0,1]
	;; [unrolled: 2-line block ×4, first 2 shown]
	v_pk_fma_f32 v[36:37], v[18:19], v[4:5], v[16:17] op_sel:[0,0,1] op_sel_hi:[1,1,0] neg_lo:[0,0,1] neg_hi:[0,0,1]
	v_pk_fma_f32 v[4:5], v[18:19], v[4:5], v[16:17] op_sel:[0,0,1] op_sel_hi:[1,0,0]
	v_pk_fma_f32 v[16:17], v[22:23], v[6:7], v[20:21] op_sel:[0,0,1] op_sel_hi:[1,1,0] neg_lo:[0,0,1] neg_hi:[0,0,1]
	v_pk_fma_f32 v[6:7], v[22:23], v[6:7], v[20:21] op_sel:[0,0,1] op_sel_hi:[1,0,0]
	;; [unrolled: 2-line block ×4, first 2 shown]
	v_mov_b32_e32 v37, v5
	v_mov_b32_e32 v17, v7
	;; [unrolled: 1-line block ×4, first 2 shown]
	v_pk_add_f32 v[4:5], v[0:1], v[36:37] neg_lo:[0,1] neg_hi:[0,1]
	v_pk_add_f32 v[6:7], v[2:3], v[16:17] neg_lo:[0,1] neg_hi:[0,1]
	;; [unrolled: 1-line block ×4, first 2 shown]
	v_pk_fma_f32 v[0:1], v[0:1], 2.0, v[4:5] op_sel_hi:[1,0,1] neg_lo:[0,0,1] neg_hi:[0,0,1]
	v_pk_fma_f32 v[2:3], v[2:3], 2.0, v[6:7] op_sel_hi:[1,0,1] neg_lo:[0,0,1] neg_hi:[0,0,1]
	;; [unrolled: 1-line block ×4, first 2 shown]
	ds_write2_b64 v38, v[4:5], v[6:7] offset0:24 offset1:206
	ds_write2_b64 v40, v[12:13], v[14:15] offset0:68 offset1:250
	ds_write2_b64 v184, v[0:1], v[2:3] offset1:182
	ds_write2_b64 v39, v[8:9], v[10:11] offset0:44 offset1:226
	s_waitcnt lgkmcnt(0)
	s_barrier
	ds_read_b64 v[6:7], v184
	v_lshlrev_b32_e32 v0, 3, v28
	v_sub_u32_e32 v8, 0, v0
	v_lshl_add_u64 v[0:1], v[28:29], 3, s[2:3]
                                        ; implicit-def: $vgpr5
                                        ; implicit-def: $vgpr2_vgpr3
	s_and_saveexec_b64 s[2:3], vcc
	s_xor_b64 s[2:3], exec, s[2:3]
	s_cbranch_execz .LBB0_21
; %bb.20:
	global_load_dwordx2 v[2:3], v[0:1], off
	ds_read_b64 v[4:5], v8 offset:11648
	v_mov_b32_e32 v11, 0.5
	v_mov_b32_e32 v12, v11
	s_waitcnt lgkmcnt(0)
	v_pk_add_f32 v[14:15], v[4:5], v[6:7]
	v_pk_add_f32 v[4:5], v[6:7], v[4:5] neg_lo:[0,1] neg_hi:[0,1]
	v_mov_b32_e32 v6, v15
	v_mov_b32_e32 v7, v4
	v_pk_mul_f32 v[6:7], v[6:7], 0.5 op_sel_hi:[1,0]
	s_waitcnt vmcnt(0)
	v_mov_b32_e32 v10, v3
	v_mov_b32_e32 v4, v7
	;; [unrolled: 1-line block ×4, first 2 shown]
	v_pk_mul_f32 v[4:5], v[10:11], v[4:5]
	v_pk_mul_f32 v[16:17], v[2:3], v[6:7] op_sel_hi:[0,1]
	v_pk_fma_f32 v[10:11], v[14:15], v[12:13], v[4:5]
	v_pk_fma_f32 v[12:13], v[14:15], v[12:13], v[4:5] neg_lo:[0,0,1] neg_hi:[0,0,1]
	v_pk_fma_f32 v[4:5], v[2:3], v[6:7], v[10:11] op_sel_hi:[0,1,1] neg_lo:[1,0,0] neg_hi:[1,0,0]
	v_pk_fma_f32 v[2:3], v[2:3], v[6:7], v[12:13] op_sel_hi:[0,1,1] neg_lo:[1,0,0] neg_hi:[1,0,0]
	v_add_f32_e32 v4, v10, v16
                                        ; implicit-def: $vgpr6_vgpr7
.LBB0_21:
	s_andn2_saveexec_b64 s[2:3], s[2:3]
	s_cbranch_execz .LBB0_23
; %bb.22:
	s_waitcnt lgkmcnt(0)
	v_mov_b32_e32 v2, v7
	v_pk_add_f32 v[2:3], v[6:7], v[2:3] neg_lo:[0,1] neg_hi:[0,1]
	v_add_f32_e32 v4, v7, v6
	v_mov_b32_e32 v3, 0
	ds_read_b32 v5, v3 offset:5828
	s_waitcnt lgkmcnt(0)
	v_xor_b32_e32 v5, 0x80000000, v5
	ds_write_b32 v3, v5 offset:5828
	v_mov_b32_e32 v5, v3
.LBB0_23:
	s_or_b64 exec, exec, s[2:3]
	s_waitcnt lgkmcnt(0)
	global_load_dwordx2 v[6:7], v[0:1], off offset:1456
	global_load_dwordx2 v[10:11], v[0:1], off offset:2912
	s_movk_i32 s2, 0x1000
	v_add_co_u32_e32 v0, vcc, s2, v0
	v_mov_b32_e32 v13, 0.5
	s_nop 0
	v_addc_co_u32_e32 v1, vcc, 0, v1, vcc
	global_load_dwordx2 v[0:1], v[0:1], off offset:272
	ds_write_b64 v184, v[4:5]
	ds_write_b64 v8, v[2:3] offset:11648
	ds_read_b64 v[2:3], v184 offset:1456
	ds_read_b64 v[4:5], v8 offset:10192
	v_mov_b32_e32 v14, v13
	s_waitcnt lgkmcnt(0)
	v_pk_add_f32 v[16:17], v[2:3], v[4:5]
	v_pk_add_f32 v[2:3], v[2:3], v[4:5] neg_lo:[0,1] neg_hi:[0,1]
	v_mov_b32_e32 v4, v17
	v_mov_b32_e32 v5, v2
	v_pk_mul_f32 v[4:5], v[4:5], 0.5 op_sel_hi:[1,0]
	s_waitcnt vmcnt(2)
	v_mov_b32_e32 v15, v7
	v_mov_b32_e32 v17, v4
	;; [unrolled: 1-line block ×4, first 2 shown]
	v_pk_mul_f32 v[14:15], v[16:17], v[14:15]
	s_nop 0
	v_pk_fma_f32 v[16:17], v[12:13], v[2:3], v[14:15] neg_lo:[1,0,0] neg_hi:[1,0,0]
	v_pk_fma_f32 v[2:3], v[12:13], v[2:3], v[14:15]
	v_pk_fma_f32 v[14:15], v[6:7], v[4:5], v[16:17] op_sel_hi:[0,1,1] neg_lo:[1,0,0] neg_hi:[1,0,0]
	v_pk_fma_f32 v[16:17], v[6:7], v[4:5], v[2:3] op_sel_hi:[0,1,1]
	v_pk_fma_f32 v[2:3], v[6:7], v[4:5], v[2:3] op_sel_hi:[0,1,1] neg_lo:[1,0,0] neg_hi:[1,0,0]
	v_mov_b32_e32 v17, v3
	ds_write_b64 v184, v[16:17] offset:1456
	ds_write_b64 v8, v[14:15] offset:10192
	ds_read_b64 v[2:3], v184 offset:2912
	ds_read_b64 v[4:5], v8 offset:8736
	v_mov_b32_e32 v6, v13
	s_waitcnt vmcnt(1)
	v_mov_b32_e32 v7, v11
	v_mov_b32_e32 v12, v11
	s_waitcnt lgkmcnt(0)
	v_pk_add_f32 v[14:15], v[2:3], v[4:5]
	v_pk_add_f32 v[2:3], v[2:3], v[4:5] neg_lo:[0,1] neg_hi:[0,1]
	v_mov_b32_e32 v4, v15
	v_mov_b32_e32 v5, v2
	v_pk_mul_f32 v[4:5], v[4:5], 0.5 op_sel_hi:[1,0]
	s_nop 0
	v_mov_b32_e32 v15, v4
	v_mov_b32_e32 v2, v5
	v_pk_mul_f32 v[6:7], v[14:15], v[6:7]
	s_nop 0
	v_pk_fma_f32 v[14:15], v[12:13], v[2:3], v[6:7] neg_lo:[1,0,0] neg_hi:[1,0,0]
	v_pk_fma_f32 v[2:3], v[12:13], v[2:3], v[6:7]
	v_pk_fma_f32 v[6:7], v[10:11], v[4:5], v[14:15] op_sel_hi:[0,1,1] neg_lo:[1,0,0] neg_hi:[1,0,0]
	v_pk_fma_f32 v[14:15], v[10:11], v[4:5], v[2:3] op_sel_hi:[0,1,1]
	v_pk_fma_f32 v[2:3], v[10:11], v[4:5], v[2:3] op_sel_hi:[0,1,1] neg_lo:[1,0,0] neg_hi:[1,0,0]
	v_mov_b32_e32 v15, v3
	ds_write_b64 v184, v[14:15] offset:2912
	ds_write_b64 v8, v[6:7] offset:8736
	ds_read_b64 v[2:3], v184 offset:4368
	ds_read_b64 v[4:5], v8 offset:7280
	v_mov_b32_e32 v6, v13
	s_waitcnt vmcnt(0)
	v_mov_b32_e32 v7, v1
	v_mov_b32_e32 v12, v1
	s_waitcnt lgkmcnt(0)
	v_pk_add_f32 v[10:11], v[2:3], v[4:5]
	v_pk_add_f32 v[2:3], v[2:3], v[4:5] neg_lo:[0,1] neg_hi:[0,1]
	v_mov_b32_e32 v4, v11
	v_mov_b32_e32 v5, v2
	v_pk_mul_f32 v[4:5], v[4:5], 0.5 op_sel_hi:[1,0]
	s_nop 0
	v_mov_b32_e32 v11, v4
	v_mov_b32_e32 v2, v5
	v_pk_mul_f32 v[6:7], v[10:11], v[6:7]
	s_nop 0
	v_pk_fma_f32 v[10:11], v[12:13], v[2:3], v[6:7] neg_lo:[1,0,0] neg_hi:[1,0,0]
	v_pk_fma_f32 v[2:3], v[12:13], v[2:3], v[6:7]
	v_pk_fma_f32 v[6:7], v[0:1], v[4:5], v[10:11] op_sel_hi:[0,1,1] neg_lo:[1,0,0] neg_hi:[1,0,0]
	v_pk_fma_f32 v[10:11], v[0:1], v[4:5], v[2:3] op_sel_hi:[0,1,1]
	v_pk_fma_f32 v[0:1], v[0:1], v[4:5], v[2:3] op_sel_hi:[0,1,1] neg_lo:[1,0,0] neg_hi:[1,0,0]
	v_mov_b32_e32 v11, v1
	ds_write_b64 v184, v[10:11] offset:4368
	ds_write_b64 v8, v[6:7] offset:7280
	s_waitcnt lgkmcnt(0)
	s_barrier
	s_and_saveexec_b64 s[2:3], s[0:1]
	s_cbranch_execz .LBB0_26
; %bb.24:
	ds_read2_b64 v[0:3], v184 offset1:182
	v_add_u32_e32 v4, 0xa00, v184
	ds_read2_b64 v[4:7], v4 offset0:44 offset1:226
	v_lshl_add_u64 v[8:9], v[28:29], 3, v[26:27]
	s_movk_i32 s0, 0xb5
	s_waitcnt lgkmcnt(1)
	global_store_dwordx2 v[8:9], v[0:1], off
	global_store_dwordx2 v[8:9], v[2:3], off offset:1456
	s_waitcnt lgkmcnt(0)
	global_store_dwordx2 v[8:9], v[4:5], off offset:2912
	v_add_u32_e32 v0, 0x1600, v184
	ds_read2_b64 v[0:3], v0 offset0:24 offset1:206
	v_add_co_u32_e32 v4, vcc, 0x1000, v8
	s_nop 1
	v_addc_co_u32_e32 v5, vcc, 0, v9, vcc
	global_store_dwordx2 v[4:5], v[6:7], off offset:272
	s_waitcnt lgkmcnt(0)
	global_store_dwordx2 v[4:5], v[0:1], off offset:1728
	global_store_dwordx2 v[4:5], v[2:3], off offset:3184
	v_add_u32_e32 v0, 0x2000, v184
	ds_read2_b64 v[0:3], v0 offset0:68 offset1:250
	v_add_co_u32_e32 v4, vcc, 0x2000, v8
	s_nop 1
	v_addc_co_u32_e32 v5, vcc, 0, v9, vcc
	v_cmp_eq_u32_e32 vcc, s0, v28
	s_waitcnt lgkmcnt(0)
	global_store_dwordx2 v[4:5], v[0:1], off offset:544
	global_store_dwordx2 v[4:5], v[2:3], off offset:2000
	s_and_b64 exec, exec, vcc
	s_cbranch_execz .LBB0_26
; %bb.25:
	v_mov_b32_e32 v0, 0
	ds_read_b64 v[0:1], v0 offset:11648
	v_add_co_u32_e32 v2, vcc, 0x2000, v26
	s_nop 1
	v_addc_co_u32_e32 v3, vcc, 0, v27, vcc
	s_waitcnt lgkmcnt(0)
	global_store_dwordx2 v[2:3], v[0:1], off offset:3456
.LBB0_26:
	s_endpgm
	.section	.rodata,"a",@progbits
	.p2align	6, 0x0
	.amdhsa_kernel fft_rtc_fwd_len1456_factors_13_4_7_2_2_wgs_182_tpt_182_halfLds_sp_ip_CI_unitstride_sbrr_R2C_dirReg
		.amdhsa_group_segment_fixed_size 0
		.amdhsa_private_segment_fixed_size 0
		.amdhsa_kernarg_size 88
		.amdhsa_user_sgpr_count 2
		.amdhsa_user_sgpr_dispatch_ptr 0
		.amdhsa_user_sgpr_queue_ptr 0
		.amdhsa_user_sgpr_kernarg_segment_ptr 1
		.amdhsa_user_sgpr_dispatch_id 0
		.amdhsa_user_sgpr_kernarg_preload_length 0
		.amdhsa_user_sgpr_kernarg_preload_offset 0
		.amdhsa_user_sgpr_private_segment_size 0
		.amdhsa_uses_dynamic_stack 0
		.amdhsa_enable_private_segment 0
		.amdhsa_system_sgpr_workgroup_id_x 1
		.amdhsa_system_sgpr_workgroup_id_y 0
		.amdhsa_system_sgpr_workgroup_id_z 0
		.amdhsa_system_sgpr_workgroup_info 0
		.amdhsa_system_vgpr_workitem_id 0
		.amdhsa_next_free_vgpr 190
		.amdhsa_next_free_sgpr 36
		.amdhsa_accum_offset 192
		.amdhsa_reserve_vcc 1
		.amdhsa_float_round_mode_32 0
		.amdhsa_float_round_mode_16_64 0
		.amdhsa_float_denorm_mode_32 3
		.amdhsa_float_denorm_mode_16_64 3
		.amdhsa_dx10_clamp 1
		.amdhsa_ieee_mode 1
		.amdhsa_fp16_overflow 0
		.amdhsa_tg_split 0
		.amdhsa_exception_fp_ieee_invalid_op 0
		.amdhsa_exception_fp_denorm_src 0
		.amdhsa_exception_fp_ieee_div_zero 0
		.amdhsa_exception_fp_ieee_overflow 0
		.amdhsa_exception_fp_ieee_underflow 0
		.amdhsa_exception_fp_ieee_inexact 0
		.amdhsa_exception_int_div_zero 0
	.end_amdhsa_kernel
	.text
.Lfunc_end0:
	.size	fft_rtc_fwd_len1456_factors_13_4_7_2_2_wgs_182_tpt_182_halfLds_sp_ip_CI_unitstride_sbrr_R2C_dirReg, .Lfunc_end0-fft_rtc_fwd_len1456_factors_13_4_7_2_2_wgs_182_tpt_182_halfLds_sp_ip_CI_unitstride_sbrr_R2C_dirReg
                                        ; -- End function
	.section	.AMDGPU.csdata,"",@progbits
; Kernel info:
; codeLenInByte = 8256
; NumSgprs: 42
; NumVgprs: 190
; NumAgprs: 0
; TotalNumVgprs: 190
; ScratchSize: 0
; MemoryBound: 0
; FloatMode: 240
; IeeeMode: 1
; LDSByteSize: 0 bytes/workgroup (compile time only)
; SGPRBlocks: 5
; VGPRBlocks: 23
; NumSGPRsForWavesPerEU: 42
; NumVGPRsForWavesPerEU: 190
; AccumOffset: 192
; Occupancy: 2
; WaveLimiterHint : 1
; COMPUTE_PGM_RSRC2:SCRATCH_EN: 0
; COMPUTE_PGM_RSRC2:USER_SGPR: 2
; COMPUTE_PGM_RSRC2:TRAP_HANDLER: 0
; COMPUTE_PGM_RSRC2:TGID_X_EN: 1
; COMPUTE_PGM_RSRC2:TGID_Y_EN: 0
; COMPUTE_PGM_RSRC2:TGID_Z_EN: 0
; COMPUTE_PGM_RSRC2:TIDIG_COMP_CNT: 0
; COMPUTE_PGM_RSRC3_GFX90A:ACCUM_OFFSET: 47
; COMPUTE_PGM_RSRC3_GFX90A:TG_SPLIT: 0
	.text
	.p2alignl 6, 3212836864
	.fill 256, 4, 3212836864
	.type	__hip_cuid_c38a7505e6d09be0,@object ; @__hip_cuid_c38a7505e6d09be0
	.section	.bss,"aw",@nobits
	.globl	__hip_cuid_c38a7505e6d09be0
__hip_cuid_c38a7505e6d09be0:
	.byte	0                               ; 0x0
	.size	__hip_cuid_c38a7505e6d09be0, 1

	.ident	"AMD clang version 19.0.0git (https://github.com/RadeonOpenCompute/llvm-project roc-6.4.0 25133 c7fe45cf4b819c5991fe208aaa96edf142730f1d)"
	.section	".note.GNU-stack","",@progbits
	.addrsig
	.addrsig_sym __hip_cuid_c38a7505e6d09be0
	.amdgpu_metadata
---
amdhsa.kernels:
  - .agpr_count:     0
    .args:
      - .actual_access:  read_only
        .address_space:  global
        .offset:         0
        .size:           8
        .value_kind:     global_buffer
      - .offset:         8
        .size:           8
        .value_kind:     by_value
      - .actual_access:  read_only
        .address_space:  global
        .offset:         16
        .size:           8
        .value_kind:     global_buffer
      - .actual_access:  read_only
        .address_space:  global
        .offset:         24
        .size:           8
        .value_kind:     global_buffer
      - .offset:         32
        .size:           8
        .value_kind:     by_value
      - .actual_access:  read_only
        .address_space:  global
        .offset:         40
        .size:           8
        .value_kind:     global_buffer
      - .actual_access:  read_only
        .address_space:  global
        .offset:         48
        .size:           8
        .value_kind:     global_buffer
      - .offset:         56
        .size:           4
        .value_kind:     by_value
      - .actual_access:  read_only
        .address_space:  global
        .offset:         64
        .size:           8
        .value_kind:     global_buffer
      - .actual_access:  read_only
        .address_space:  global
        .offset:         72
        .size:           8
        .value_kind:     global_buffer
      - .address_space:  global
        .offset:         80
        .size:           8
        .value_kind:     global_buffer
    .group_segment_fixed_size: 0
    .kernarg_segment_align: 8
    .kernarg_segment_size: 88
    .language:       OpenCL C
    .language_version:
      - 2
      - 0
    .max_flat_workgroup_size: 182
    .name:           fft_rtc_fwd_len1456_factors_13_4_7_2_2_wgs_182_tpt_182_halfLds_sp_ip_CI_unitstride_sbrr_R2C_dirReg
    .private_segment_fixed_size: 0
    .sgpr_count:     42
    .sgpr_spill_count: 0
    .symbol:         fft_rtc_fwd_len1456_factors_13_4_7_2_2_wgs_182_tpt_182_halfLds_sp_ip_CI_unitstride_sbrr_R2C_dirReg.kd
    .uniform_work_group_size: 1
    .uses_dynamic_stack: false
    .vgpr_count:     190
    .vgpr_spill_count: 0
    .wavefront_size: 64
amdhsa.target:   amdgcn-amd-amdhsa--gfx950
amdhsa.version:
  - 1
  - 2
...

	.end_amdgpu_metadata
